;; amdgpu-corpus repo=ROCm/rocFFT kind=compiled arch=gfx1201 opt=O3
	.text
	.amdgcn_target "amdgcn-amd-amdhsa--gfx1201"
	.amdhsa_code_object_version 6
	.protected	bluestein_single_back_len1190_dim1_dp_op_CI_CI ; -- Begin function bluestein_single_back_len1190_dim1_dp_op_CI_CI
	.globl	bluestein_single_back_len1190_dim1_dp_op_CI_CI
	.p2align	8
	.type	bluestein_single_back_len1190_dim1_dp_op_CI_CI,@function
bluestein_single_back_len1190_dim1_dp_op_CI_CI: ; @bluestein_single_back_len1190_dim1_dp_op_CI_CI
; %bb.0:
	s_load_b128 s[8:11], s[0:1], 0x28
	v_mul_u32_u24_e32 v1, 0x304, v0
	s_mov_b32 s2, exec_lo
	s_delay_alu instid0(VALU_DEP_1) | instskip(NEXT) | instid1(VALU_DEP_1)
	v_lshrrev_b32_e32 v1, 16, v1
	v_mad_co_u64_u32 v[242:243], null, ttmp9, 3, v[1:2]
	v_mov_b32_e32 v243, 0
                                        ; kill: def $vgpr2 killed $sgpr0 killed $exec
	s_wait_kmcnt 0x0
	s_delay_alu instid0(VALU_DEP_1)
	v_cmpx_gt_u64_e64 s[8:9], v[242:243]
	s_cbranch_execz .LBB0_23
; %bb.1:
	v_mul_hi_u32 v2, 0xaaaaaaab, v242
	s_clause 0x1
	s_load_b64 s[8:9], s[0:1], 0x0
	s_load_b64 s[12:13], s[0:1], 0x38
	v_mul_lo_u16 v1, 0x55, v1
	s_delay_alu instid0(VALU_DEP_1) | instskip(NEXT) | instid1(VALU_DEP_3)
	v_sub_nc_u16 v0, v0, v1
	v_lshrrev_b32_e32 v2, 1, v2
	s_delay_alu instid0(VALU_DEP_2) | instskip(NEXT) | instid1(VALU_DEP_2)
	v_and_b32_e32 v243, 0xffff, v0
	v_lshl_add_u32 v2, v2, 1, v2
	v_cmp_gt_u16_e32 vcc_lo, 0x46, v0
	s_delay_alu instid0(VALU_DEP_3) | instskip(NEXT) | instid1(VALU_DEP_3)
	v_lshlrev_b32_e32 v255, 4, v243
	v_sub_nc_u32_e32 v1, v242, v2
	s_delay_alu instid0(VALU_DEP_1) | instskip(NEXT) | instid1(VALU_DEP_1)
	v_mul_u32_u24_e32 v241, 0x4a6, v1
	v_lshlrev_b32_e32 v244, 4, v241
	s_and_saveexec_b32 s3, vcc_lo
	s_cbranch_execz .LBB0_3
; %bb.2:
	s_load_b64 s[4:5], s[0:1], 0x18
	s_wait_kmcnt 0x0
	s_load_b128 s[4:7], s[4:5], 0x0
	s_wait_kmcnt 0x0
	v_mad_co_u64_u32 v[16:17], null, s6, v242, 0
	v_mad_co_u64_u32 v[32:33], null, s4, v243, 0
	s_delay_alu instid0(VALU_DEP_1) | instskip(NEXT) | instid1(VALU_DEP_1)
	v_dual_mov_b32 v0, v17 :: v_dual_mov_b32 v1, v33
	v_mad_co_u64_u32 v[2:3], null, s7, v242, v[0:1]
	s_delay_alu instid0(VALU_DEP_1)
	v_mad_co_u64_u32 v[18:19], null, s5, v243, v[1:2]
	v_mov_b32_e32 v17, v2
	s_mul_u64 s[4:5], s[4:5], 0x460
	s_clause 0x3
	global_load_b128 v[0:3], v255, s[8:9]
	global_load_b128 v[4:7], v255, s[8:9] offset:1120
	global_load_b128 v[8:11], v255, s[8:9] offset:2240
	global_load_b128 v[12:15], v255, s[8:9] offset:3360
	v_lshlrev_b64_e32 v[34:35], 4, v[16:17]
	v_mov_b32_e32 v33, v18
	s_clause 0x3
	global_load_b128 v[16:19], v255, s[8:9] offset:4480
	global_load_b128 v[20:23], v255, s[8:9] offset:5600
	;; [unrolled: 1-line block ×4, first 2 shown]
	v_add_co_u32 v42, s2, s10, v34
	v_lshlrev_b64_e32 v[40:41], 4, v[32:33]
	v_add_co_ci_u32_e64 v43, s2, s11, v35, s2
	s_clause 0x1
	global_load_b128 v[32:35], v255, s[8:9] offset:8960
	global_load_b128 v[36:39], v255, s[8:9] offset:10080
	v_add_co_u32 v56, s2, v42, v40
	s_wait_alu 0xf1ff
	v_add_co_ci_u32_e64 v57, s2, v43, v41, s2
	s_clause 0x1
	global_load_b128 v[40:43], v255, s[8:9] offset:11200
	global_load_b128 v[44:47], v255, s[8:9] offset:12320
	s_wait_alu 0xfffe
	v_add_co_u32 v60, s2, v56, s4
	s_wait_alu 0xf1ff
	v_add_co_ci_u32_e64 v61, s2, s5, v57, s2
	s_clause 0x1
	global_load_b128 v[48:51], v255, s[8:9] offset:13440
	global_load_b128 v[52:55], v255, s[8:9] offset:14560
	v_add_co_u32 v64, s2, v60, s4
	s_wait_alu 0xf1ff
	v_add_co_ci_u32_e64 v65, s2, s5, v61, s2
	s_clause 0x1
	global_load_b128 v[56:59], v[56:57], off
	global_load_b128 v[60:63], v[60:61], off
	v_add_co_u32 v68, s2, v64, s4
	s_wait_alu 0xf1ff
	v_add_co_ci_u32_e64 v69, s2, s5, v65, s2
	s_delay_alu instid0(VALU_DEP_2) | instskip(SKIP_1) | instid1(VALU_DEP_2)
	v_add_co_u32 v72, s2, v68, s4
	s_wait_alu 0xf1ff
	v_add_co_ci_u32_e64 v73, s2, s5, v69, s2
	s_clause 0x1
	global_load_b128 v[64:67], v[64:65], off
	global_load_b128 v[68:71], v[68:69], off
	v_add_co_u32 v76, s2, v72, s4
	s_wait_alu 0xf1ff
	v_add_co_ci_u32_e64 v77, s2, s5, v73, s2
	global_load_b128 v[72:75], v[72:73], off
	v_add_co_u32 v80, s2, v76, s4
	s_wait_alu 0xf1ff
	v_add_co_ci_u32_e64 v81, s2, s5, v77, s2
	;; [unrolled: 4-line block ×12, first 2 shown]
	s_clause 0x1
	global_load_b128 v[116:119], v255, s[8:9] offset:15680
	global_load_b128 v[120:123], v255, s[8:9] offset:16800
	global_load_b128 v[124:127], v[124:125], off
	global_load_b128 v[128:131], v255, s[8:9] offset:17920
	global_load_b128 v[132:135], v[132:133], off
	s_wait_loadcnt 0x13
	v_mul_f64_e32 v[136:137], v[58:59], v[2:3]
	v_mul_f64_e32 v[2:3], v[56:57], v[2:3]
	s_wait_loadcnt 0x12
	v_mul_f64_e32 v[138:139], v[62:63], v[6:7]
	v_mul_f64_e32 v[6:7], v[60:61], v[6:7]
	s_wait_loadcnt 0x11
	v_mul_f64_e32 v[140:141], v[66:67], v[10:11]
	v_mul_f64_e32 v[10:11], v[64:65], v[10:11]
	s_wait_loadcnt 0x10
	v_mul_f64_e32 v[142:143], v[70:71], v[14:15]
	v_mul_f64_e32 v[14:15], v[68:69], v[14:15]
	s_wait_loadcnt 0xf
	v_mul_f64_e32 v[144:145], v[74:75], v[18:19]
	v_mul_f64_e32 v[18:19], v[72:73], v[18:19]
	s_wait_loadcnt 0xe
	v_mul_f64_e32 v[146:147], v[78:79], v[22:23]
	v_mul_f64_e32 v[22:23], v[76:77], v[22:23]
	s_wait_loadcnt 0xd
	v_mul_f64_e32 v[148:149], v[82:83], v[26:27]
	v_mul_f64_e32 v[26:27], v[80:81], v[26:27]
	s_wait_loadcnt 0xc
	v_mul_f64_e32 v[150:151], v[86:87], v[30:31]
	v_mul_f64_e32 v[30:31], v[84:85], v[30:31]
	s_wait_loadcnt 0xb
	v_mul_f64_e32 v[152:153], v[90:91], v[34:35]
	v_mul_f64_e32 v[34:35], v[88:89], v[34:35]
	s_wait_loadcnt 0xa
	v_mul_f64_e32 v[154:155], v[94:95], v[38:39]
	v_mul_f64_e32 v[38:39], v[92:93], v[38:39]
	s_wait_loadcnt 0x9
	v_mul_f64_e32 v[156:157], v[98:99], v[42:43]
	v_mul_f64_e32 v[42:43], v[96:97], v[42:43]
	s_wait_loadcnt 0x8
	v_mul_f64_e32 v[158:159], v[102:103], v[46:47]
	v_mul_f64_e32 v[46:47], v[100:101], v[46:47]
	s_wait_loadcnt 0x7
	v_mul_f64_e32 v[160:161], v[106:107], v[50:51]
	v_mul_f64_e32 v[50:51], v[104:105], v[50:51]
	s_wait_loadcnt 0x6
	v_mul_f64_e32 v[162:163], v[110:111], v[54:55]
	v_mul_f64_e32 v[164:165], v[108:109], v[54:55]
	v_fma_f64 v[54:55], v[56:57], v[0:1], v[136:137]
	v_fma_f64 v[56:57], v[58:59], v[0:1], -v[2:3]
	v_fma_f64 v[0:1], v[60:61], v[4:5], v[138:139]
	v_fma_f64 v[2:3], v[62:63], v[4:5], -v[6:7]
	s_wait_loadcnt 0x4
	v_mul_f64_e32 v[166:167], v[114:115], v[118:119]
	v_mul_f64_e32 v[118:119], v[112:113], v[118:119]
	s_wait_loadcnt 0x2
	v_mul_f64_e32 v[168:169], v[126:127], v[122:123]
	v_mul_f64_e32 v[122:123], v[124:125], v[122:123]
	s_wait_loadcnt 0x0
	v_mul_f64_e32 v[170:171], v[134:135], v[130:131]
	v_mul_f64_e32 v[130:131], v[132:133], v[130:131]
	v_fma_f64 v[4:5], v[64:65], v[8:9], v[140:141]
	v_fma_f64 v[6:7], v[66:67], v[8:9], -v[10:11]
	v_fma_f64 v[8:9], v[68:69], v[12:13], v[142:143]
	v_fma_f64 v[10:11], v[70:71], v[12:13], -v[14:15]
	;; [unrolled: 2-line block ×12, first 2 shown]
	v_lshl_add_u32 v52, v243, 4, v244
	v_add_nc_u32_e32 v53, v244, v255
	v_fma_f64 v[58:59], v[112:113], v[116:117], v[166:167]
	v_fma_f64 v[60:61], v[114:115], v[116:117], -v[118:119]
	v_fma_f64 v[62:63], v[124:125], v[120:121], v[168:169]
	v_fma_f64 v[64:65], v[126:127], v[120:121], -v[122:123]
	;; [unrolled: 2-line block ×3, first 2 shown]
	ds_store_b128 v52, v[54:57]
	ds_store_b128 v53, v[0:3] offset:1120
	ds_store_b128 v53, v[4:7] offset:2240
	;; [unrolled: 1-line block ×16, first 2 shown]
.LBB0_3:
	s_or_b32 exec_lo, exec_lo, s3
	s_clause 0x1
	s_load_b64 s[4:5], s[0:1], 0x20
	s_load_b64 s[2:3], s[0:1], 0x8
	global_wb scope:SCOPE_SE
	s_wait_dscnt 0x0
	s_wait_kmcnt 0x0
	s_barrier_signal -1
	s_barrier_wait -1
	global_inv scope:SCOPE_SE
                                        ; implicit-def: $vgpr8_vgpr9
                                        ; implicit-def: $vgpr28_vgpr29
                                        ; implicit-def: $vgpr32_vgpr33
                                        ; implicit-def: $vgpr36_vgpr37
                                        ; implicit-def: $vgpr40_vgpr41
                                        ; implicit-def: $vgpr48_vgpr49
                                        ; implicit-def: $vgpr52_vgpr53
                                        ; implicit-def: $vgpr60_vgpr61
                                        ; implicit-def: $vgpr68_vgpr69
                                        ; implicit-def: $vgpr72_vgpr73
                                        ; implicit-def: $vgpr64_vgpr65
                                        ; implicit-def: $vgpr56_vgpr57
                                        ; implicit-def: $vgpr44_vgpr45
                                        ; implicit-def: $vgpr24_vgpr25
                                        ; implicit-def: $vgpr20_vgpr21
                                        ; implicit-def: $vgpr16_vgpr17
                                        ; implicit-def: $vgpr12_vgpr13
	s_and_saveexec_b32 s0, vcc_lo
	s_cbranch_execz .LBB0_5
; %bb.4:
	v_lshl_add_u32 v0, v241, 4, v255
	ds_load_b128 v[8:11], v0
	ds_load_b128 v[28:31], v0 offset:1120
	ds_load_b128 v[32:35], v0 offset:2240
	;; [unrolled: 1-line block ×16, first 2 shown]
.LBB0_5:
	s_wait_alu 0xfffe
	s_or_b32 exec_lo, exec_lo, s0
	s_wait_dscnt 0x0
	v_add_f64_e64 v[164:165], v[30:31], -v[14:15]
	s_mov_b32 s0, 0x5d8e7cdc
	s_mov_b32 s1, 0xbfd71e95
	v_add_f64_e32 v[156:157], v[28:29], v[12:13]
	v_add_f64_e64 v[94:95], v[34:35], -v[18:19]
	s_mov_b32 s6, 0x2a9d6da3
	s_mov_b32 s14, 0x370991
	;; [unrolled: 1-line block ×4, first 2 shown]
	v_add_f64_e32 v[76:77], v[32:33], v[16:17]
	v_add_f64_e64 v[174:175], v[28:29], -v[12:13]
	s_mov_b32 s10, 0x75d4884
	s_mov_b32 s11, 0x3fe7a5f6
	v_add_f64_e32 v[170:171], v[30:31], v[14:15]
	v_add_f64_e64 v[92:93], v[32:33], -v[16:17]
	v_add_f64_e32 v[80:81], v[34:35], v[18:19]
	v_add_f64_e64 v[110:111], v[38:39], -v[22:23]
	s_mov_b32 s18, 0x7c9e640b
	s_mov_b32 s19, 0xbfeca52d
	v_add_f64_e32 v[88:89], v[36:37], v[20:21]
	v_add_f64_e64 v[104:105], v[36:37], -v[20:21]
	s_mov_b32 s16, 0x2b2883cd
	s_mov_b32 s17, 0x3fdc86fa
	;; [unrolled: 4-line block ×5, first 2 shown]
	s_mov_b32 s27, 0xbfeec746
	s_mov_b32 s26, s38
	v_add_f64_e32 v[106:107], v[48:49], v[44:45]
	s_wait_alu 0xfffe
	v_mul_f64_e32 v[158:159], s[0:1], v[164:165]
	v_add_f64_e64 v[136:137], v[48:49], -v[44:45]
	s_mov_b32 s24, 0xc61f0d01
	s_mov_b32 s25, 0xbfd183b1
	v_mul_f64_e32 v[78:79], s[6:7], v[94:95]
	v_add_f64_e32 v[122:123], v[50:51], v[46:47]
	v_add_f64_e64 v[160:161], v[54:55], -v[58:59]
	s_mov_b32 s34, 0x6c9a05f6
	s_mov_b32 s35, 0xbfe9895b
	v_add_f64_e32 v[118:119], v[52:53], v[56:57]
	v_mul_f64_e32 v[172:173], s[0:1], v[174:175]
	v_add_f64_e64 v[152:153], v[52:53], -v[56:57]
	s_mov_b32 s28, 0x6ed5f1bb
	s_mov_b32 s29, 0xbfe348c8
	v_mul_f64_e32 v[82:83], s[6:7], v[92:93]
	v_add_f64_e32 v[132:133], v[54:55], v[58:59]
	v_mul_f64_e32 v[90:91], s[18:19], v[110:111]
	v_add_f64_e64 v[166:167], v[62:63], -v[66:67]
	s_mov_b32 s40, 0x4363dd80
	s_mov_b32 s41, 0x3fe0d888
	v_mul_f64_e32 v[98:99], s[18:19], v[104:105]
	s_mov_b32 s45, 0xbfe0d888
	s_mov_b32 s44, s40
	v_add_f64_e32 v[128:129], v[60:61], v[64:65]
	v_mul_f64_e32 v[102:103], s[22:23], v[126:127]
	v_add_f64_e64 v[154:155], v[60:61], -v[64:65]
	s_mov_b32 s30, 0x910ea3b9
	s_mov_b32 s31, 0xbfeb34fa
	v_mul_f64_e32 v[114:115], s[22:23], v[116:117]
	v_add_f64_e32 v[142:143], v[62:63], v[66:67]
	v_add_f64_e64 v[168:169], v[70:71], -v[74:75]
	s_mov_b32 s42, 0xacd6c6b4
	v_mul_f64_e32 v[108:109], s[26:27], v[146:147]
	s_mov_b32 s43, 0x3fc7851a
	s_mov_b32 s49, 0xbfc7851a
	;; [unrolled: 1-line block ×3, first 2 shown]
	v_add_f64_e32 v[138:139], v[68:69], v[72:73]
	v_add_f64_e64 v[162:163], v[68:69], -v[72:73]
	v_fma_f64 v[0:1], v[156:157], s[14:15], v[158:159]
	v_mul_f64_e32 v[124:125], s[26:27], v[136:137]
	s_mov_b32 s36, 0x7faef3
	s_mov_b32 s37, 0xbfef7484
	v_fma_f64 v[2:3], v[76:77], s[10:11], v[78:79]
	v_add_f64_e32 v[148:149], v[70:71], v[74:75]
	v_mul_f64_e32 v[120:121], s[34:35], v[160:161]
	v_mul_f64_e32 v[233:234], s[6:7], v[164:165]
	;; [unrolled: 1-line block ×8, first 2 shown]
	v_fma_f64 v[4:5], v[80:81], s[10:11], -v[82:83]
	v_mul_f64_e32 v[186:187], s[48:49], v[126:127]
	v_mul_f64_e32 v[211:212], s[48:49], v[116:117]
	;; [unrolled: 1-line block ×7, first 2 shown]
	s_mov_b32 s47, 0x3feca52d
	s_mov_b32 s46, s18
	;; [unrolled: 1-line block ×3, first 2 shown]
	v_mul_f64_e32 v[144:145], s[44:45], v[154:155]
	v_mul_f64_e32 v[192:193], s[46:47], v[166:167]
	;; [unrolled: 1-line block ×3, first 2 shown]
	s_mov_b32 s50, s0
	v_mul_f64_e32 v[237:238], s[18:19], v[164:165]
	v_mul_f64_e32 v[140:141], s[48:49], v[168:169]
	;; [unrolled: 1-line block ×9, first 2 shown]
	v_add_f64_e32 v[0:1], v[8:9], v[0:1]
	v_mul_f64_e32 v[205:206], s[50:51], v[162:163]
	v_mul_f64_e32 v[207:208], s[38:39], v[126:127]
	v_mul_f64_e32 v[227:228], s[38:39], v[116:117]
	s_mov_b32 s53, 0x3fe58eea
	s_mov_b32 s52, s6
	v_mul_f64_e32 v[217:218], s[0:1], v[160:161]
	v_mul_f64_e32 v[225:226], s[52:53], v[146:147]
	;; [unrolled: 1-line block ×8, first 2 shown]
	global_wb scope:SCOPE_SE
	s_barrier_signal -1
	s_barrier_wait -1
	global_inv scope:SCOPE_SE
	v_add_f64_e32 v[0:1], v[2:3], v[0:1]
	v_fma_f64 v[2:3], v[170:171], s[14:15], -v[172:173]
	s_delay_alu instid0(VALU_DEP_1) | instskip(NEXT) | instid1(VALU_DEP_1)
	v_add_f64_e32 v[2:3], v[10:11], v[2:3]
	v_add_f64_e32 v[2:3], v[4:5], v[2:3]
	v_fma_f64 v[4:5], v[88:89], s[16:17], v[90:91]
	s_delay_alu instid0(VALU_DEP_1) | instskip(SKIP_1) | instid1(VALU_DEP_1)
	v_add_f64_e32 v[0:1], v[4:5], v[0:1]
	v_fma_f64 v[4:5], v[96:97], s[16:17], -v[98:99]
	v_add_f64_e32 v[2:3], v[4:5], v[2:3]
	v_fma_f64 v[4:5], v[100:101], s[20:21], v[102:103]
	s_delay_alu instid0(VALU_DEP_1) | instskip(SKIP_1) | instid1(VALU_DEP_1)
	v_add_f64_e32 v[0:1], v[4:5], v[0:1]
	v_fma_f64 v[4:5], v[112:113], s[20:21], -v[114:115]
	;; [unrolled: 5-line block ×5, first 2 shown]
	v_add_f64_e32 v[2:3], v[4:5], v[2:3]
	v_fma_f64 v[4:5], v[138:139], s[36:37], v[140:141]
	s_delay_alu instid0(VALU_DEP_1) | instskip(SKIP_2) | instid1(VALU_DEP_2)
	v_add_f64_e32 v[245:246], v[4:5], v[0:1]
	v_fma_f64 v[0:1], v[148:149], s[36:37], -v[150:151]
	v_fma_f64 v[4:5], v[80:81], s[20:21], -v[182:183]
	v_add_f64_e32 v[247:248], v[0:1], v[2:3]
	v_fma_f64 v[0:1], v[156:157], s[10:11], v[233:234]
	v_fma_f64 v[2:3], v[76:77], s[20:21], v[176:177]
	s_delay_alu instid0(VALU_DEP_2) | instskip(NEXT) | instid1(VALU_DEP_1)
	v_add_f64_e32 v[0:1], v[8:9], v[0:1]
	v_add_f64_e32 v[0:1], v[2:3], v[0:1]
	v_fma_f64 v[2:3], v[170:171], s[10:11], -v[235:236]
	s_delay_alu instid0(VALU_DEP_1) | instskip(NEXT) | instid1(VALU_DEP_1)
	v_add_f64_e32 v[2:3], v[10:11], v[2:3]
	v_add_f64_e32 v[2:3], v[4:5], v[2:3]
	v_fma_f64 v[4:5], v[88:89], s[28:29], v[180:181]
	s_delay_alu instid0(VALU_DEP_1) | instskip(SKIP_1) | instid1(VALU_DEP_1)
	v_add_f64_e32 v[0:1], v[4:5], v[0:1]
	v_fma_f64 v[4:5], v[96:97], s[28:29], -v[196:197]
	v_add_f64_e32 v[2:3], v[4:5], v[2:3]
	v_fma_f64 v[4:5], v[100:101], s[36:37], v[186:187]
	s_delay_alu instid0(VALU_DEP_1) | instskip(SKIP_1) | instid1(VALU_DEP_1)
	v_add_f64_e32 v[0:1], v[4:5], v[0:1]
	v_fma_f64 v[4:5], v[112:113], s[36:37], -v[211:212]
	;; [unrolled: 5-line block ×5, first 2 shown]
	v_add_f64_e32 v[2:3], v[4:5], v[2:3]
	v_fma_f64 v[4:5], v[138:139], s[14:15], v[194:195]
	s_delay_alu instid0(VALU_DEP_1) | instskip(SKIP_2) | instid1(VALU_DEP_2)
	v_add_f64_e32 v[249:250], v[4:5], v[0:1]
	v_fma_f64 v[0:1], v[148:149], s[14:15], -v[205:206]
	v_fma_f64 v[4:5], v[80:81], s[28:29], -v[198:199]
	v_add_f64_e32 v[251:252], v[0:1], v[2:3]
	v_fma_f64 v[0:1], v[156:157], s[16:17], v[237:238]
	v_fma_f64 v[2:3], v[76:77], s[28:29], v[178:179]
	s_delay_alu instid0(VALU_DEP_2) | instskip(NEXT) | instid1(VALU_DEP_1)
	v_add_f64_e32 v[0:1], v[8:9], v[0:1]
	v_add_f64_e32 v[0:1], v[2:3], v[0:1]
	v_fma_f64 v[2:3], v[170:171], s[16:17], -v[239:240]
	s_delay_alu instid0(VALU_DEP_1) | instskip(NEXT) | instid1(VALU_DEP_1)
	v_add_f64_e32 v[2:3], v[10:11], v[2:3]
	v_add_f64_e32 v[2:3], v[4:5], v[2:3]
	v_fma_f64 v[4:5], v[88:89], s[36:37], v[184:185]
	s_delay_alu instid0(VALU_DEP_1) | instskip(SKIP_1) | instid1(VALU_DEP_1)
	v_add_f64_e32 v[0:1], v[4:5], v[0:1]
	v_fma_f64 v[4:5], v[96:97], s[36:37], -v[215:216]
	v_add_f64_e32 v[2:3], v[4:5], v[2:3]
	v_fma_f64 v[4:5], v[100:101], s[24:25], v[207:208]
	s_delay_alu instid0(VALU_DEP_1) | instskip(SKIP_1) | instid1(VALU_DEP_1)
	v_add_f64_e32 v[0:1], v[4:5], v[0:1]
	v_fma_f64 v[4:5], v[112:113], s[24:25], -v[227:228]
	;; [unrolled: 5-line block ×6, first 2 shown]
	v_add_f64_e32 v[86:87], v[0:1], v[2:3]
	s_and_saveexec_b32 s33, vcc_lo
	s_cbranch_execz .LBB0_7
; %bb.6:
	v_add_f64_e32 v[0:1], v[10:11], v[30:31]
	v_add_f64_e32 v[2:3], v[8:9], v[28:29]
	s_mov_b32 s55, 0x3fe9895b
	s_mov_b32 s54, s34
	v_mul_f64_e32 v[30:31], s[16:17], v[156:157]
	v_mul_f64_e32 v[4:5], s[30:31], v[170:171]
	;; [unrolled: 1-line block ×3, first 2 shown]
	s_mov_b32 s57, 0x3fefdd0d
	s_mov_b32 s56, s22
	v_add_f64_e32 v[0:1], v[0:1], v[34:35]
	v_add_f64_e32 v[2:3], v[2:3], v[32:33]
	v_mul_f64_e32 v[34:35], s[10:11], v[156:157]
	v_mul_f64_e32 v[32:33], s[10:11], v[170:171]
	v_add_f64_e64 v[30:31], v[30:31], -v[237:238]
	v_fma_f64 v[6:7], v[174:175], s[40:41], v[4:5]
	v_fma_f64 v[4:5], v[174:175], s[44:45], v[4:5]
	v_add_f64_e32 v[28:29], v[239:240], v[28:29]
	v_add_f64_e32 v[0:1], v[0:1], v[38:39]
	;; [unrolled: 1-line block ×3, first 2 shown]
	v_mul_f64_e32 v[38:39], s[48:49], v[164:165]
	v_add_f64_e64 v[34:35], v[34:35], -v[233:234]
	v_mul_f64_e32 v[36:37], s[14:15], v[170:171]
	v_add_f64_e32 v[32:33], v[235:236], v[32:33]
	v_add_f64_e32 v[6:7], v[10:11], v[6:7]
	;; [unrolled: 1-line block ×5, first 2 shown]
	v_mul_f64_e32 v[40:41], s[44:45], v[164:165]
	v_mul_f64_e32 v[42:43], s[34:35], v[164:165]
	v_add_f64_e32 v[36:37], v[172:173], v[36:37]
	v_add_f64_e32 v[0:1], v[0:1], v[50:51]
	;; [unrolled: 1-line block ×3, first 2 shown]
	v_fma_f64 v[48:49], v[156:157], s[36:37], v[38:39]
	v_fma_f64 v[38:39], v[156:157], s[36:37], -v[38:39]
	v_fma_f64 v[50:51], v[156:157], s[30:31], v[40:41]
	v_fma_f64 v[40:41], v[156:157], s[30:31], -v[40:41]
	v_add_f64_e32 v[0:1], v[0:1], v[54:55]
	v_add_f64_e32 v[2:3], v[2:3], v[52:53]
	v_fma_f64 v[52:53], v[156:157], s[28:29], v[42:43]
	v_fma_f64 v[42:43], v[156:157], s[28:29], -v[42:43]
	v_add_f64_e32 v[48:49], v[8:9], v[48:49]
	v_add_f64_e32 v[38:39], v[8:9], v[38:39]
	v_add_f64_e32 v[50:51], v[8:9], v[50:51]
	v_add_f64_e32 v[40:41], v[8:9], v[40:41]
	v_add_f64_e32 v[0:1], v[0:1], v[62:63]
	v_add_f64_e32 v[2:3], v[2:3], v[60:61]
	v_add_f64_e32 v[52:53], v[8:9], v[52:53]
	s_delay_alu instid0(VALU_DEP_3) | instskip(NEXT) | instid1(VALU_DEP_3)
	v_add_f64_e32 v[0:1], v[0:1], v[70:71]
	v_add_f64_e32 v[2:3], v[2:3], v[68:69]
	s_delay_alu instid0(VALU_DEP_2) | instskip(NEXT) | instid1(VALU_DEP_2)
	v_add_f64_e32 v[0:1], v[0:1], v[74:75]
	v_add_f64_e32 v[2:3], v[2:3], v[72:73]
	;; [unrolled: 1-line block ×6, first 2 shown]
	v_mul_f64_e32 v[32:33], s[28:29], v[122:123]
	v_mul_f64_e32 v[34:35], s[34:35], v[146:147]
	v_add_f64_e32 v[0:1], v[0:1], v[66:67]
	v_add_f64_e32 v[2:3], v[2:3], v[64:65]
	;; [unrolled: 1-line block ×3, first 2 shown]
	s_delay_alu instid0(VALU_DEP_3) | instskip(NEXT) | instid1(VALU_DEP_3)
	v_add_f64_e32 v[0:1], v[0:1], v[58:59]
	v_add_f64_e32 v[2:3], v[2:3], v[56:57]
	v_mul_f64_e32 v[58:59], s[14:15], v[156:157]
	s_delay_alu instid0(VALU_DEP_3) | instskip(NEXT) | instid1(VALU_DEP_3)
	v_add_f64_e32 v[0:1], v[0:1], v[46:47]
	v_add_f64_e32 v[2:3], v[2:3], v[44:45]
	v_mul_f64_e32 v[44:45], s[26:27], v[164:165]
	v_mul_f64_e32 v[46:47], s[22:23], v[164:165]
	v_add_f64_e64 v[58:59], v[58:59], -v[158:159]
	v_mul_f64_e32 v[164:165], s[26:27], v[166:167]
	v_add_f64_e32 v[0:1], v[0:1], v[26:27]
	v_add_f64_e32 v[2:3], v[2:3], v[24:25]
	v_mul_f64_e32 v[24:25], s[20:21], v[170:171]
	v_fma_f64 v[54:55], v[156:157], s[24:25], v[44:45]
	v_fma_f64 v[44:45], v[156:157], s[24:25], -v[44:45]
	v_fma_f64 v[56:57], v[156:157], s[20:21], v[46:47]
	v_fma_f64 v[46:47], v[156:157], s[20:21], -v[46:47]
	v_add_f64_e32 v[158:159], v[8:9], v[58:59]
	v_add_f64_e32 v[156:157], v[10:11], v[36:37]
	v_mul_f64_e32 v[36:37], s[16:17], v[132:133]
	v_mul_f64_e32 v[58:59], s[24:25], v[142:143]
	v_add_f64_e32 v[0:1], v[0:1], v[22:23]
	v_add_f64_e32 v[2:3], v[2:3], v[20:21]
	v_mul_f64_e32 v[20:21], s[24:25], v[170:171]
	v_fma_f64 v[26:27], v[174:175], s[56:57], v[24:25]
	v_fma_f64 v[24:25], v[174:175], s[22:23], v[24:25]
	v_add_f64_e32 v[54:55], v[8:9], v[54:55]
	v_add_f64_e32 v[44:45], v[8:9], v[44:45]
	v_add_f64_e32 v[56:57], v[8:9], v[56:57]
	v_add_f64_e32 v[46:47], v[8:9], v[46:47]
	v_add_f64_e32 v[0:1], v[0:1], v[18:19]
	v_add_f64_e32 v[2:3], v[2:3], v[16:17]
	v_mul_f64_e32 v[16:17], s[28:29], v[170:171]
	v_fma_f64 v[22:23], v[174:175], s[38:39], v[20:21]
	v_fma_f64 v[20:21], v[174:175], s[26:27], v[20:21]
	v_add_f64_e32 v[68:69], v[10:11], v[26:27]
	v_add_f64_e32 v[70:71], v[10:11], v[24:25]
	v_mul_f64_e32 v[24:25], s[10:11], v[112:113]
	v_mul_f64_e32 v[26:27], s[52:53], v[126:127]
	v_add_f64_e32 v[14:15], v[0:1], v[14:15]
	v_mul_f64_e32 v[0:1], s[36:37], v[170:171]
	v_fma_f64 v[18:19], v[174:175], s[54:55], v[16:17]
	v_fma_f64 v[16:17], v[174:175], s[34:35], v[16:17]
	v_add_f64_e32 v[12:13], v[2:3], v[12:13]
	v_add_f64_e32 v[42:43], v[10:11], v[20:21]
	v_mul_f64_e32 v[20:21], s[30:31], v[96:97]
	v_add_f64_e32 v[66:67], v[10:11], v[22:23]
	v_mul_f64_e32 v[22:23], s[44:45], v[110:111]
	v_mul_f64_e32 v[170:171], s[20:21], v[148:149]
	v_fma_f64 v[2:3], v[174:175], s[42:43], v[0:1]
	v_fma_f64 v[0:1], v[174:175], s[48:49], v[0:1]
	v_add_f64_e32 v[62:63], v[10:11], v[16:17]
	v_mul_f64_e32 v[16:17], s[14:15], v[80:81]
	v_add_f64_e32 v[60:61], v[10:11], v[18:19]
	v_mul_f64_e32 v[18:19], s[50:51], v[94:95]
	v_mul_f64_e32 v[174:175], s[44:45], v[160:161]
	v_add_f64_e32 v[2:3], v[10:11], v[2:3]
	v_add_f64_e32 v[0:1], v[10:11], v[0:1]
	v_fma_f64 v[10:11], v[104:105], s[40:41], v[20:21]
	v_fma_f64 v[8:9], v[92:93], s[0:1], v[16:17]
	v_fma_f64 v[16:17], v[92:93], s[50:51], v[16:17]
	s_delay_alu instid0(VALU_DEP_2) | instskip(SKIP_1) | instid1(VALU_DEP_3)
	v_add_f64_e32 v[2:3], v[8:9], v[2:3]
	v_fma_f64 v[8:9], v[76:77], s[14:15], v[18:19]
	v_add_f64_e32 v[0:1], v[16:17], v[0:1]
	v_fma_f64 v[16:17], v[76:77], s[14:15], -v[18:19]
	v_fma_f64 v[18:19], v[104:105], s[44:45], v[20:21]
	v_add_f64_e32 v[2:3], v[10:11], v[2:3]
	v_add_f64_e32 v[8:9], v[8:9], v[48:49]
	v_fma_f64 v[10:11], v[88:89], s[30:31], v[22:23]
	v_add_f64_e32 v[16:17], v[16:17], v[38:39]
	v_add_f64_e32 v[0:1], v[18:19], v[0:1]
	v_fma_f64 v[18:19], v[88:89], s[30:31], -v[22:23]
	v_mul_f64_e32 v[48:49], s[46:47], v[160:161]
	v_mul_f64_e32 v[38:39], s[0:1], v[146:147]
	v_add_f64_e32 v[8:9], v[10:11], v[8:9]
	v_fma_f64 v[10:11], v[116:117], s[6:7], v[24:25]
	v_add_f64_e32 v[16:17], v[18:19], v[16:17]
	v_fma_f64 v[18:19], v[116:117], s[52:53], v[24:25]
	v_mul_f64_e32 v[24:25], s[20:21], v[96:97]
	s_delay_alu instid0(VALU_DEP_4) | instskip(SKIP_1) | instid1(VALU_DEP_4)
	v_add_f64_e32 v[2:3], v[10:11], v[2:3]
	v_fma_f64 v[10:11], v[100:101], s[10:11], v[26:27]
	v_add_f64_e32 v[0:1], v[18:19], v[0:1]
	v_fma_f64 v[18:19], v[100:101], s[10:11], -v[26:27]
	v_fma_f64 v[22:23], v[104:105], s[56:57], v[24:25]
	v_mul_f64_e32 v[26:27], s[22:23], v[110:111]
	v_add_f64_e32 v[8:9], v[10:11], v[8:9]
	v_fma_f64 v[10:11], v[136:137], s[54:55], v[32:33]
	v_add_f64_e32 v[16:17], v[18:19], v[16:17]
	v_fma_f64 v[18:19], v[136:137], s[34:35], v[32:33]
	v_mul_f64_e32 v[32:33], s[28:29], v[112:113]
	s_delay_alu instid0(VALU_DEP_4) | instskip(SKIP_1) | instid1(VALU_DEP_4)
	v_add_f64_e32 v[2:3], v[10:11], v[2:3]
	v_fma_f64 v[10:11], v[106:107], s[28:29], v[34:35]
	v_add_f64_e32 v[0:1], v[18:19], v[0:1]
	v_fma_f64 v[18:19], v[106:107], s[28:29], -v[34:35]
	v_mul_f64_e32 v[34:35], s[54:55], v[126:127]
	s_delay_alu instid0(VALU_DEP_4) | instskip(SKIP_1) | instid1(VALU_DEP_4)
	v_add_f64_e32 v[8:9], v[10:11], v[8:9]
	v_fma_f64 v[10:11], v[152:153], s[18:19], v[36:37]
	v_add_f64_e32 v[16:17], v[18:19], v[16:17]
	v_fma_f64 v[18:19], v[152:153], s[46:47], v[36:37]
	v_mul_f64_e32 v[36:37], s[14:15], v[122:123]
	s_delay_alu instid0(VALU_DEP_4) | instskip(SKIP_1) | instid1(VALU_DEP_4)
	v_add_f64_e32 v[2:3], v[10:11], v[2:3]
	v_fma_f64 v[10:11], v[118:119], s[16:17], v[48:49]
	v_add_f64_e32 v[0:1], v[18:19], v[0:1]
	v_fma_f64 v[18:19], v[118:119], s[16:17], -v[48:49]
	v_mul_f64_e32 v[48:49], s[36:37], v[132:133]
	s_delay_alu instid0(VALU_DEP_4) | instskip(SKIP_1) | instid1(VALU_DEP_4)
	;; [unrolled: 12-line block ×3, first 2 shown]
	v_add_f64_e32 v[8:9], v[10:11], v[8:9]
	v_fma_f64 v[10:11], v[162:163], s[22:23], v[170:171]
	v_add_f64_e32 v[16:17], v[18:19], v[16:17]
	v_fma_f64 v[18:19], v[162:163], s[56:57], v[170:171]
	v_mul_f64_e32 v[170:171], s[24:25], v[148:149]
	s_delay_alu instid0(VALU_DEP_4) | instskip(SKIP_1) | instid1(VALU_DEP_4)
	v_add_f64_e32 v[10:11], v[10:11], v[2:3]
	v_mul_f64_e32 v[2:3], s[56:57], v[168:169]
	v_add_f64_e32 v[18:19], v[18:19], v[0:1]
	v_mul_f64_e32 v[0:1], s[16:17], v[80:81]
	s_delay_alu instid0(VALU_DEP_3) | instskip(SKIP_1) | instid1(VALU_DEP_2)
	v_fma_f64 v[172:173], v[138:139], s[20:21], v[2:3]
	v_fma_f64 v[2:3], v[138:139], s[20:21], -v[2:3]
	v_add_f64_e32 v[8:9], v[172:173], v[8:9]
	s_delay_alu instid0(VALU_DEP_2) | instskip(SKIP_2) | instid1(VALU_DEP_2)
	v_add_f64_e32 v[16:17], v[2:3], v[16:17]
	v_fma_f64 v[2:3], v[92:93], s[18:19], v[0:1]
	v_fma_f64 v[0:1], v[92:93], s[46:47], v[0:1]
	v_add_f64_e32 v[2:3], v[2:3], v[6:7]
	v_mul_f64_e32 v[6:7], s[46:47], v[94:95]
	s_delay_alu instid0(VALU_DEP_3) | instskip(NEXT) | instid1(VALU_DEP_3)
	v_add_f64_e32 v[0:1], v[0:1], v[4:5]
	v_add_f64_e32 v[2:3], v[22:23], v[2:3]
	s_delay_alu instid0(VALU_DEP_3) | instskip(SKIP_3) | instid1(VALU_DEP_4)
	v_fma_f64 v[20:21], v[76:77], s[16:17], v[6:7]
	v_fma_f64 v[22:23], v[88:89], s[20:21], v[26:27]
	v_fma_f64 v[4:5], v[76:77], s[16:17], -v[6:7]
	v_fma_f64 v[6:7], v[104:105], s[22:23], v[24:25]
	v_add_f64_e32 v[20:21], v[20:21], v[50:51]
	v_mul_f64_e32 v[50:51], s[48:49], v[160:161]
	s_delay_alu instid0(VALU_DEP_4) | instskip(NEXT) | instid1(VALU_DEP_4)
	v_add_f64_e32 v[4:5], v[4:5], v[40:41]
	v_add_f64_e32 v[0:1], v[6:7], v[0:1]
	v_fma_f64 v[6:7], v[88:89], s[20:21], -v[26:27]
	v_mul_f64_e32 v[40:41], s[24:25], v[132:133]
	v_add_f64_e32 v[20:21], v[22:23], v[20:21]
	v_fma_f64 v[22:23], v[116:117], s[34:35], v[32:33]
	s_delay_alu instid0(VALU_DEP_4)
	v_add_f64_e32 v[4:5], v[6:7], v[4:5]
	v_fma_f64 v[6:7], v[116:117], s[54:55], v[32:33]
	v_mul_f64_e32 v[32:33], s[36:37], v[100:101]
	v_add_f64_e32 v[40:41], v[200:201], v[40:41]
	v_mul_f64_e32 v[200:201], s[14:15], v[142:143]
	v_add_f64_e32 v[2:3], v[22:23], v[2:3]
	v_fma_f64 v[22:23], v[100:101], s[28:29], v[34:35]
	v_add_f64_e32 v[0:1], v[6:7], v[0:1]
	v_fma_f64 v[6:7], v[100:101], s[28:29], -v[34:35]
	v_mul_f64_e32 v[34:35], s[28:29], v[88:89]
	v_add_f64_e64 v[32:33], v[32:33], -v[186:187]
	v_mul_f64_e32 v[186:187], s[52:53], v[110:111]
	v_add_f64_e32 v[20:21], v[22:23], v[20:21]
	v_fma_f64 v[22:23], v[136:137], s[50:51], v[36:37]
	v_add_f64_e32 v[4:5], v[6:7], v[4:5]
	v_fma_f64 v[6:7], v[136:137], s[0:1], v[36:37]
	v_mul_f64_e32 v[36:37], s[20:21], v[76:77]
	v_add_f64_e64 v[34:35], v[34:35], -v[180:181]
	v_mul_f64_e32 v[180:181], s[10:11], v[148:149]
	v_add_f64_e32 v[2:3], v[22:23], v[2:3]
	v_fma_f64 v[22:23], v[106:107], s[14:15], v[38:39]
	v_add_f64_e32 v[0:1], v[6:7], v[0:1]
	v_fma_f64 v[6:7], v[106:107], s[14:15], -v[38:39]
	v_add_f64_e64 v[36:37], v[36:37], -v[176:177]
	v_mul_f64_e32 v[38:39], s[30:31], v[106:107]
	v_mul_f64_e32 v[176:177], s[28:29], v[142:143]
	v_add_f64_e32 v[20:21], v[22:23], v[20:21]
	v_fma_f64 v[22:23], v[152:153], s[42:43], v[48:49]
	v_add_f64_e32 v[4:5], v[6:7], v[4:5]
	v_fma_f64 v[6:7], v[152:153], s[48:49], v[48:49]
	v_add_f64_e64 v[38:39], v[38:39], -v[188:189]
	v_mul_f64_e32 v[48:49], s[14:15], v[118:119]
	v_mul_f64_e32 v[188:189], s[16:17], v[112:113]
	v_add_f64_e32 v[2:3], v[22:23], v[2:3]
	v_fma_f64 v[22:23], v[118:119], s[36:37], v[50:51]
	v_add_f64_e32 v[0:1], v[6:7], v[0:1]
	v_fma_f64 v[6:7], v[118:119], s[36:37], -v[50:51]
	v_add_f64_e64 v[48:49], v[48:49], -v[217:218]
	v_mul_f64_e32 v[50:51], s[38:39], v[94:95]
	v_add_f64_e32 v[20:21], v[22:23], v[20:21]
	v_fma_f64 v[22:23], v[154:155], s[6:7], v[58:59]
	v_add_f64_e32 v[4:5], v[6:7], v[4:5]
	v_fma_f64 v[6:7], v[154:155], s[52:53], v[58:59]
	v_mul_f64_e32 v[58:59], s[24:25], v[96:97]
	s_delay_alu instid0(VALU_DEP_4) | instskip(SKIP_1) | instid1(VALU_DEP_4)
	v_add_f64_e32 v[2:3], v[22:23], v[2:3]
	v_fma_f64 v[22:23], v[128:129], s[10:11], v[164:165]
	v_add_f64_e32 v[0:1], v[6:7], v[0:1]
	v_fma_f64 v[6:7], v[128:129], s[10:11], -v[164:165]
	v_mul_f64_e32 v[164:165], s[16:17], v[122:123]
	s_delay_alu instid0(VALU_DEP_4) | instskip(SKIP_1) | instid1(VALU_DEP_4)
	v_add_f64_e32 v[20:21], v[22:23], v[20:21]
	v_fma_f64 v[22:23], v[162:163], s[38:39], v[170:171]
	v_add_f64_e32 v[4:5], v[6:7], v[4:5]
	v_fma_f64 v[6:7], v[162:163], s[26:27], v[170:171]
	v_mul_f64_e32 v[170:171], s[18:19], v[146:147]
	s_delay_alu instid0(VALU_DEP_4) | instskip(SKIP_1) | instid1(VALU_DEP_4)
	v_add_f64_e32 v[22:23], v[22:23], v[2:3]
	v_mul_f64_e32 v[2:3], s[26:27], v[168:169]
	v_add_f64_e32 v[26:27], v[6:7], v[0:1]
	v_mul_f64_e32 v[6:7], s[20:21], v[80:81]
	v_mul_f64_e32 v[0:1], s[30:31], v[122:123]
	s_delay_alu instid0(VALU_DEP_4) | instskip(SKIP_1) | instid1(VALU_DEP_4)
	v_fma_f64 v[172:173], v[138:139], s[24:25], v[2:3]
	v_fma_f64 v[2:3], v[138:139], s[24:25], -v[2:3]
	v_add_f64_e32 v[6:7], v[182:183], v[6:7]
	s_delay_alu instid0(VALU_DEP_4)
	v_add_f64_e32 v[0:1], v[221:222], v[0:1]
	v_mul_f64_e32 v[182:183], s[40:41], v[94:95]
	v_add_f64_e32 v[20:21], v[172:173], v[20:21]
	v_add_f64_e32 v[24:25], v[2:3], v[4:5]
	v_mul_f64_e32 v[4:5], s[28:29], v[96:97]
	v_mul_f64_e32 v[2:3], s[36:37], v[112:113]
	v_add_f64_e32 v[6:7], v[6:7], v[28:29]
	v_add_f64_e32 v[28:29], v[36:37], v[30:31]
	v_mul_f64_e32 v[30:31], s[24:25], v[118:119]
	v_mul_f64_e32 v[36:37], s[36:37], v[88:89]
	;; [unrolled: 1-line block ×3, first 2 shown]
	v_add_f64_e32 v[4:5], v[196:197], v[4:5]
	v_add_f64_e32 v[2:3], v[211:212], v[2:3]
	v_mul_f64_e32 v[196:197], s[20:21], v[132:133]
	v_add_f64_e64 v[30:31], v[30:31], -v[190:191]
	v_add_f64_e64 v[36:37], v[36:37], -v[184:185]
	v_mul_f64_e32 v[184:185], s[10:11], v[96:97]
	v_mul_f64_e32 v[190:191], s[18:19], v[126:127]
	v_add_f64_e32 v[4:5], v[4:5], v[6:7]
	v_add_f64_e32 v[6:7], v[34:35], v[28:29]
	v_mul_f64_e32 v[28:29], s[16:17], v[142:143]
	v_mul_f64_e32 v[34:35], s[24:25], v[100:101]
	s_delay_alu instid0(VALU_DEP_4) | instskip(NEXT) | instid1(VALU_DEP_4)
	v_add_f64_e32 v[2:3], v[2:3], v[4:5]
	v_add_f64_e32 v[4:5], v[32:33], v[6:7]
	v_mul_f64_e32 v[6:7], s[16:17], v[128:129]
	v_add_f64_e32 v[28:29], v[202:203], v[28:29]
	v_add_f64_e64 v[34:35], v[34:35], -v[207:208]
	v_mul_f64_e32 v[202:203], s[0:1], v[166:167]
	v_add_f64_e32 v[0:1], v[0:1], v[2:3]
	v_add_f64_e32 v[2:3], v[38:39], v[4:5]
	v_add_f64_e64 v[6:7], v[6:7], -v[192:193]
	v_mul_f64_e32 v[4:5], s[14:15], v[148:149]
	v_mul_f64_e32 v[38:39], s[28:29], v[76:77]
	;; [unrolled: 1-line block ×3, first 2 shown]
	v_add_f64_e32 v[0:1], v[40:41], v[0:1]
	v_add_f64_e32 v[2:3], v[30:31], v[2:3]
	v_mul_f64_e32 v[30:31], s[14:15], v[138:139]
	v_add_f64_e32 v[4:5], v[205:206], v[4:5]
	v_add_f64_e64 v[38:39], v[38:39], -v[178:179]
	v_mul_f64_e32 v[40:41], s[14:15], v[132:133]
	v_mul_f64_e32 v[178:179], s[54:55], v[166:167]
	;; [unrolled: 1-line block ×5, first 2 shown]
	v_add_f64_e32 v[0:1], v[28:29], v[0:1]
	v_add_f64_e32 v[2:3], v[6:7], v[2:3]
	v_mul_f64_e32 v[6:7], s[28:29], v[80:81]
	v_add_f64_e64 v[32:33], v[30:31], -v[194:195]
	v_add_f64_e32 v[38:39], v[38:39], v[74:75]
	v_add_f64_e32 v[40:41], v[229:230], v[40:41]
	v_mul_f64_e32 v[74:75], s[50:51], v[126:127]
	v_mul_f64_e32 v[194:195], s[48:49], v[146:147]
	;; [unrolled: 1-line block ×3, first 2 shown]
	v_add_f64_e32 v[30:31], v[4:5], v[0:1]
	v_mul_f64_e32 v[4:5], s[36:37], v[96:97]
	v_add_f64_e32 v[6:7], v[198:199], v[6:7]
	v_add_f64_e32 v[28:29], v[32:33], v[2:3]
	v_mul_f64_e32 v[2:3], s[24:25], v[112:113]
	v_mul_f64_e32 v[0:1], s[10:11], v[122:123]
	;; [unrolled: 1-line block ×5, first 2 shown]
	v_add_f64_e32 v[4:5], v[215:216], v[4:5]
	v_add_f64_e32 v[6:7], v[6:7], v[72:73]
	v_mul_f64_e32 v[72:73], s[14:15], v[112:113]
	v_add_f64_e32 v[2:3], v[227:228], v[2:3]
	v_add_f64_e32 v[0:1], v[231:232], v[0:1]
	v_add_f64_e64 v[32:33], v[32:33], -v[225:226]
	v_add_f64_e32 v[4:5], v[4:5], v[6:7]
	v_add_f64_e32 v[6:7], v[36:37], v[38:39]
	v_mul_f64_e32 v[36:37], s[20:21], v[142:143]
	s_delay_alu instid0(VALU_DEP_3) | instskip(NEXT) | instid1(VALU_DEP_3)
	v_add_f64_e32 v[2:3], v[2:3], v[4:5]
	v_add_f64_e32 v[4:5], v[34:35], v[6:7]
	s_delay_alu instid0(VALU_DEP_3) | instskip(SKIP_1) | instid1(VALU_DEP_4)
	v_add_f64_e32 v[36:37], v[223:224], v[36:37]
	v_mul_f64_e32 v[6:7], s[20:21], v[128:129]
	v_add_f64_e32 v[0:1], v[0:1], v[2:3]
	s_delay_alu instid0(VALU_DEP_4) | instskip(SKIP_1) | instid1(VALU_DEP_4)
	v_add_f64_e32 v[2:3], v[32:33], v[4:5]
	v_mul_f64_e32 v[4:5], s[30:31], v[148:149]
	v_add_f64_e64 v[6:7], v[6:7], -v[213:214]
	v_mul_f64_e32 v[32:33], s[30:31], v[138:139]
	v_mul_f64_e32 v[214:215], s[16:17], v[148:149]
	v_add_f64_e32 v[0:1], v[40:41], v[0:1]
	v_add_f64_e32 v[2:3], v[48:49], v[2:3]
	;; [unrolled: 1-line block ×3, first 2 shown]
	v_mul_f64_e32 v[48:49], s[24:25], v[80:81]
	v_add_f64_e64 v[32:33], v[32:33], -v[209:210]
	v_add_f64_e32 v[0:1], v[36:37], v[0:1]
	v_add_f64_e32 v[2:3], v[6:7], v[2:3]
	v_fma_f64 v[36:37], v[104:105], s[38:39], v[58:59]
	v_fma_f64 v[58:59], v[104:105], s[26:27], v[58:59]
	s_delay_alu instid0(VALU_DEP_4) | instskip(SKIP_3) | instid1(VALU_DEP_3)
	v_add_f64_e32 v[34:35], v[4:5], v[0:1]
	v_mul_f64_e32 v[0:1], s[36:37], v[80:81]
	v_add_f64_e32 v[32:33], v[32:33], v[2:3]
	v_mul_f64_e32 v[4:5], s[48:49], v[94:95]
	v_fma_f64 v[2:3], v[92:93], s[48:49], v[0:1]
	v_fma_f64 v[0:1], v[92:93], s[42:43], v[0:1]
	s_delay_alu instid0(VALU_DEP_3) | instskip(SKIP_1) | instid1(VALU_DEP_4)
	v_fma_f64 v[6:7], v[76:77], s[36:37], -v[4:5]
	v_fma_f64 v[4:5], v[76:77], s[36:37], v[4:5]
	v_add_f64_e32 v[2:3], v[2:3], v[70:71]
	v_mul_f64_e32 v[70:71], s[38:39], v[110:111]
	s_delay_alu instid0(VALU_DEP_4)
	v_add_f64_e32 v[6:7], v[6:7], v[46:47]
	v_fma_f64 v[46:47], v[76:77], s[24:25], -v[50:51]
	v_fma_f64 v[50:51], v[76:77], s[24:25], v[50:51]
	v_add_f64_e32 v[0:1], v[0:1], v[68:69]
	v_add_f64_e32 v[4:5], v[4:5], v[56:57]
	v_mul_f64_e32 v[68:69], s[28:29], v[132:133]
	v_add_f64_e32 v[2:3], v[36:37], v[2:3]
	v_fma_f64 v[36:37], v[88:89], s[24:25], -v[70:71]
	v_fma_f64 v[56:57], v[88:89], s[24:25], v[70:71]
	v_add_f64_e32 v[46:47], v[46:47], v[64:65]
	v_add_f64_e32 v[50:51], v[50:51], v[52:53]
	;; [unrolled: 1-line block ×5, first 2 shown]
	v_fma_f64 v[36:37], v[116:117], s[50:51], v[72:73]
	v_add_f64_e32 v[4:5], v[56:57], v[4:5]
	v_fma_f64 v[56:57], v[100:101], s[14:15], v[74:75]
	s_delay_alu instid0(VALU_DEP_3) | instskip(SKIP_1) | instid1(VALU_DEP_3)
	v_add_f64_e32 v[2:3], v[36:37], v[2:3]
	v_fma_f64 v[36:37], v[100:101], s[14:15], -v[74:75]
	v_add_f64_e32 v[4:5], v[56:57], v[4:5]
	s_delay_alu instid0(VALU_DEP_2) | instskip(SKIP_1) | instid1(VALU_DEP_1)
	v_add_f64_e32 v[6:7], v[36:37], v[6:7]
	v_fma_f64 v[36:37], v[136:137], s[18:19], v[164:165]
	v_add_f64_e32 v[2:3], v[36:37], v[2:3]
	v_fma_f64 v[36:37], v[106:107], s[16:17], -v[170:171]
	s_delay_alu instid0(VALU_DEP_1) | instskip(SKIP_1) | instid1(VALU_DEP_1)
	v_add_f64_e32 v[6:7], v[36:37], v[6:7]
	v_fma_f64 v[36:37], v[152:153], s[44:45], v[172:173]
	v_add_f64_e32 v[2:3], v[36:37], v[2:3]
	v_fma_f64 v[36:37], v[118:119], s[30:31], -v[174:175]
	s_delay_alu instid0(VALU_DEP_1) | instskip(SKIP_1) | instid1(VALU_DEP_1)
	;; [unrolled: 5-line block ×3, first 2 shown]
	v_add_f64_e32 v[6:7], v[36:37], v[6:7]
	v_fma_f64 v[36:37], v[162:163], s[52:53], v[180:181]
	v_add_f64_e32 v[38:39], v[36:37], v[2:3]
	v_mul_f64_e32 v[2:3], s[52:53], v[168:169]
	v_mul_f64_e32 v[168:169], s[46:47], v[168:169]
	s_delay_alu instid0(VALU_DEP_2) | instskip(SKIP_1) | instid1(VALU_DEP_2)
	v_fma_f64 v[36:37], v[138:139], s[10:11], -v[2:3]
	v_fma_f64 v[2:3], v[138:139], s[10:11], v[2:3]
	v_add_f64_e32 v[36:37], v[36:37], v[6:7]
	v_mul_f64_e32 v[6:7], s[30:31], v[80:81]
	s_delay_alu instid0(VALU_DEP_1) | instskip(SKIP_1) | instid1(VALU_DEP_2)
	v_fma_f64 v[40:41], v[92:93], s[40:41], v[6:7]
	v_fma_f64 v[6:7], v[92:93], s[44:45], v[6:7]
	v_add_f64_e32 v[40:41], v[40:41], v[42:43]
	v_fma_f64 v[42:43], v[76:77], s[30:31], -v[182:183]
	s_delay_alu instid0(VALU_DEP_3) | instskip(SKIP_1) | instid1(VALU_DEP_3)
	v_add_f64_e32 v[6:7], v[6:7], v[66:67]
	v_fma_f64 v[66:67], v[162:163], s[6:7], v[180:181]
	v_add_f64_e32 v[42:43], v[42:43], v[44:45]
	v_fma_f64 v[44:45], v[104:105], s[52:53], v[184:185]
	s_delay_alu instid0(VALU_DEP_1) | instskip(SKIP_1) | instid1(VALU_DEP_1)
	v_add_f64_e32 v[40:41], v[44:45], v[40:41]
	v_fma_f64 v[44:45], v[88:89], s[10:11], -v[186:187]
	v_add_f64_e32 v[42:43], v[44:45], v[42:43]
	v_fma_f64 v[44:45], v[116:117], s[18:19], v[188:189]
	s_delay_alu instid0(VALU_DEP_1) | instskip(SKIP_1) | instid1(VALU_DEP_1)
	v_add_f64_e32 v[40:41], v[44:45], v[40:41]
	v_fma_f64 v[44:45], v[100:101], s[16:17], -v[190:191]
	;; [unrolled: 5-line block ×6, first 2 shown]
	v_add_f64_e32 v[40:41], v[40:41], v[44:45]
	v_fma_f64 v[44:45], v[92:93], s[38:39], v[48:49]
	v_fma_f64 v[48:49], v[92:93], s[26:27], v[48:49]
	s_delay_alu instid0(VALU_DEP_2) | instskip(SKIP_1) | instid1(VALU_DEP_3)
	v_add_f64_e32 v[44:45], v[44:45], v[62:63]
	v_mul_f64_e32 v[62:63], s[14:15], v[96:97]
	v_add_f64_e32 v[48:49], v[48:49], v[60:61]
	v_fma_f64 v[60:61], v[138:139], s[16:17], v[168:169]
	s_delay_alu instid0(VALU_DEP_3) | instskip(SKIP_2) | instid1(VALU_DEP_3)
	v_fma_f64 v[64:65], v[104:105], s[0:1], v[62:63]
	v_fma_f64 v[52:53], v[104:105], s[50:51], v[62:63]
	;; [unrolled: 1-line block ×3, first 2 shown]
	v_add_f64_e32 v[44:45], v[64:65], v[44:45]
	v_mul_f64_e32 v[64:65], s[0:1], v[110:111]
	s_delay_alu instid0(VALU_DEP_4) | instskip(NEXT) | instid1(VALU_DEP_2)
	v_add_f64_e32 v[48:49], v[52:53], v[48:49]
	v_fma_f64 v[94:95], v[88:89], s[14:15], -v[64:65]
	v_fma_f64 v[52:53], v[88:89], s[14:15], v[64:65]
	v_fma_f64 v[64:65], v[154:155], s[34:35], v[176:177]
	s_delay_alu instid0(VALU_DEP_3) | instskip(SKIP_1) | instid1(VALU_DEP_4)
	v_add_f64_e32 v[46:47], v[94:95], v[46:47]
	v_mul_f64_e32 v[94:95], s[30:31], v[112:113]
	v_add_f64_e32 v[50:51], v[52:53], v[50:51]
	s_delay_alu instid0(VALU_DEP_2) | instskip(SKIP_1) | instid1(VALU_DEP_2)
	v_fma_f64 v[110:111], v[116:117], s[44:45], v[94:95]
	v_fma_f64 v[52:53], v[116:117], s[40:41], v[94:95]
	v_add_f64_e32 v[44:45], v[110:111], v[44:45]
	v_mul_f64_e32 v[110:111], s[44:45], v[126:127]
	s_delay_alu instid0(VALU_DEP_3) | instskip(NEXT) | instid1(VALU_DEP_2)
	v_add_f64_e32 v[48:49], v[52:53], v[48:49]
	v_fma_f64 v[126:127], v[100:101], s[30:31], -v[110:111]
	v_fma_f64 v[52:53], v[100:101], s[30:31], v[110:111]
	s_delay_alu instid0(VALU_DEP_2) | instskip(SKIP_1) | instid1(VALU_DEP_3)
	v_add_f64_e32 v[46:47], v[126:127], v[46:47]
	v_mul_f64_e32 v[126:127], s[20:21], v[122:123]
	v_add_f64_e32 v[50:51], v[52:53], v[50:51]
	s_delay_alu instid0(VALU_DEP_2) | instskip(SKIP_1) | instid1(VALU_DEP_2)
	v_fma_f64 v[208:209], v[136:137], s[56:57], v[126:127]
	v_fma_f64 v[52:53], v[136:137], s[22:23], v[126:127]
	v_add_f64_e32 v[44:45], v[208:209], v[44:45]
	v_fma_f64 v[208:209], v[106:107], s[20:21], -v[146:147]
	s_delay_alu instid0(VALU_DEP_3) | instskip(SKIP_1) | instid1(VALU_DEP_3)
	v_add_f64_e32 v[48:49], v[52:53], v[48:49]
	v_fma_f64 v[52:53], v[106:107], s[20:21], v[146:147]
	v_add_f64_e32 v[46:47], v[208:209], v[46:47]
	v_mul_f64_e32 v[208:209], s[10:11], v[132:133]
	s_delay_alu instid0(VALU_DEP_3) | instskip(NEXT) | instid1(VALU_DEP_2)
	v_add_f64_e32 v[50:51], v[52:53], v[50:51]
	v_fma_f64 v[210:211], v[152:153], s[6:7], v[208:209]
	v_fma_f64 v[52:53], v[152:153], s[52:53], v[208:209]
	s_delay_alu instid0(VALU_DEP_2) | instskip(SKIP_1) | instid1(VALU_DEP_3)
	v_add_f64_e32 v[44:45], v[210:211], v[44:45]
	v_fma_f64 v[210:211], v[118:119], s[10:11], -v[160:161]
	v_add_f64_e32 v[48:49], v[52:53], v[48:49]
	v_fma_f64 v[52:53], v[118:119], s[10:11], v[160:161]
	s_delay_alu instid0(VALU_DEP_3) | instskip(SKIP_1) | instid1(VALU_DEP_3)
	v_add_f64_e32 v[46:47], v[210:211], v[46:47]
	v_mul_f64_e32 v[210:211], s[36:37], v[142:143]
	v_add_f64_e32 v[50:51], v[52:53], v[50:51]
	s_delay_alu instid0(VALU_DEP_2) | instskip(SKIP_1) | instid1(VALU_DEP_2)
	v_fma_f64 v[52:53], v[154:155], s[42:43], v[210:211]
	v_fma_f64 v[212:213], v[154:155], s[48:49], v[210:211]
	v_add_f64_e32 v[48:49], v[52:53], v[48:49]
	v_fma_f64 v[52:53], v[128:129], s[36:37], v[166:167]
	s_delay_alu instid0(VALU_DEP_3) | instskip(SKIP_1) | instid1(VALU_DEP_3)
	v_add_f64_e32 v[44:45], v[212:213], v[44:45]
	v_fma_f64 v[212:213], v[128:129], s[36:37], -v[166:167]
	v_add_f64_e32 v[52:53], v[52:53], v[50:51]
	v_fma_f64 v[50:51], v[162:163], s[18:19], v[214:215]
	s_delay_alu instid0(VALU_DEP_3) | instskip(SKIP_1) | instid1(VALU_DEP_3)
	v_add_f64_e32 v[212:213], v[212:213], v[46:47]
	v_fma_f64 v[46:47], v[162:163], s[46:47], v[214:215]
	v_add_f64_e32 v[50:51], v[50:51], v[48:49]
	v_add_f64_e32 v[48:49], v[60:61], v[52:53]
	v_fma_f64 v[52:53], v[76:77], s[30:31], v[182:183]
	v_fma_f64 v[60:61], v[138:139], s[28:29], v[206:207]
	v_add_f64_e32 v[46:47], v[46:47], v[44:45]
	v_fma_f64 v[44:45], v[138:139], s[16:17], -v[168:169]
	s_delay_alu instid0(VALU_DEP_4) | instskip(SKIP_1) | instid1(VALU_DEP_3)
	v_add_f64_e32 v[52:53], v[52:53], v[54:55]
	v_fma_f64 v[54:55], v[104:105], s[6:7], v[184:185]
	v_add_f64_e32 v[44:45], v[44:45], v[212:213]
	s_delay_alu instid0(VALU_DEP_2) | instskip(SKIP_1) | instid1(VALU_DEP_1)
	v_add_f64_e32 v[6:7], v[54:55], v[6:7]
	v_fma_f64 v[54:55], v[88:89], s[10:11], v[186:187]
	v_add_f64_e32 v[52:53], v[54:55], v[52:53]
	v_fma_f64 v[54:55], v[116:117], s[46:47], v[188:189]
	s_delay_alu instid0(VALU_DEP_1) | instskip(SKIP_1) | instid1(VALU_DEP_1)
	v_add_f64_e32 v[6:7], v[54:55], v[6:7]
	v_fma_f64 v[54:55], v[100:101], s[16:17], v[190:191]
	v_add_f64_e32 v[52:53], v[54:55], v[52:53]
	v_fma_f64 v[54:55], v[136:137], s[42:43], v[192:193]
	s_delay_alu instid0(VALU_DEP_1) | instskip(SKIP_1) | instid1(VALU_DEP_1)
	;; [unrolled: 5-line block ×4, first 2 shown]
	v_add_f64_e32 v[6:7], v[54:55], v[6:7]
	v_fma_f64 v[54:55], v[128:129], s[14:15], v[202:203]
	v_add_f64_e32 v[52:53], v[54:55], v[52:53]
	v_fma_f64 v[54:55], v[162:163], s[54:55], v[204:205]
	s_delay_alu instid0(VALU_DEP_2) | instskip(SKIP_1) | instid1(VALU_DEP_3)
	v_add_f64_e32 v[52:53], v[60:61], v[52:53]
	v_fma_f64 v[60:61], v[116:117], s[0:1], v[72:73]
	v_add_f64_e32 v[54:55], v[54:55], v[6:7]
	v_fma_f64 v[6:7], v[136:137], s[46:47], v[164:165]
	s_delay_alu instid0(VALU_DEP_3) | instskip(SKIP_1) | instid1(VALU_DEP_2)
	v_add_f64_e32 v[0:1], v[60:61], v[0:1]
	v_mul_f64_e32 v[60:61], s[16:17], v[88:89]
	v_add_f64_e32 v[0:1], v[6:7], v[0:1]
	v_fma_f64 v[6:7], v[106:107], s[16:17], v[170:171]
	s_delay_alu instid0(VALU_DEP_3) | instskip(NEXT) | instid1(VALU_DEP_3)
	v_add_f64_e64 v[60:61], v[60:61], -v[90:91]
	v_add_f64_e32 v[0:1], v[62:63], v[0:1]
	s_delay_alu instid0(VALU_DEP_3) | instskip(SKIP_2) | instid1(VALU_DEP_4)
	v_add_f64_e32 v[4:5], v[6:7], v[4:5]
	v_fma_f64 v[6:7], v[118:119], s[30:31], v[174:175]
	v_mul_f64_e32 v[62:63], s[10:11], v[76:77]
	v_add_f64_e32 v[0:1], v[64:65], v[0:1]
	v_mul_f64_e32 v[64:65], s[24:25], v[122:123]
	s_delay_alu instid0(VALU_DEP_4)
	v_add_f64_e32 v[4:5], v[6:7], v[4:5]
	v_fma_f64 v[6:7], v[128:129], s[28:29], v[178:179]
	v_add_f64_e64 v[62:63], v[62:63], -v[78:79]
	v_add_f64_e32 v[58:59], v[66:67], v[0:1]
	v_mul_f64_e32 v[0:1], s[20:21], v[112:113]
	v_add_f64_e32 v[64:65], v[124:125], v[64:65]
	v_add_f64_e32 v[4:5], v[6:7], v[4:5]
	v_mul_f64_e32 v[6:7], s[20:21], v[100:101]
	v_add_f64_e32 v[62:63], v[62:63], v[158:159]
	v_mul_f64_e32 v[66:67], s[24:25], v[106:107]
	v_add_f64_e32 v[0:1], v[114:115], v[0:1]
	v_add_f64_e32 v[56:57], v[2:3], v[4:5]
	v_mul_f64_e32 v[4:5], s[10:11], v[80:81]
	v_mul_f64_e32 v[2:3], s[16:17], v[96:97]
	v_add_f64_e64 v[6:7], v[6:7], -v[102:103]
	v_add_f64_e64 v[66:67], v[66:67], -v[108:109]
	s_delay_alu instid0(VALU_DEP_4) | instskip(NEXT) | instid1(VALU_DEP_4)
	v_add_f64_e32 v[4:5], v[82:83], v[4:5]
	v_add_f64_e32 v[2:3], v[98:99], v[2:3]
	s_delay_alu instid0(VALU_DEP_2) | instskip(NEXT) | instid1(VALU_DEP_1)
	v_add_f64_e32 v[4:5], v[4:5], v[156:157]
	v_add_f64_e32 v[2:3], v[2:3], v[4:5]
	;; [unrolled: 1-line block ×3, first 2 shown]
	v_mul_f64_e32 v[60:61], s[28:29], v[118:119]
	s_delay_alu instid0(VALU_DEP_3) | instskip(NEXT) | instid1(VALU_DEP_3)
	v_add_f64_e32 v[0:1], v[0:1], v[2:3]
	v_add_f64_e32 v[2:3], v[6:7], v[4:5]
	v_mul_f64_e32 v[4:5], s[30:31], v[142:143]
	s_delay_alu instid0(VALU_DEP_4) | instskip(SKIP_4) | instid1(VALU_DEP_4)
	v_add_f64_e64 v[60:61], v[60:61], -v[120:121]
	v_mul_f64_e32 v[6:7], s[30:31], v[128:129]
	v_add_f64_e32 v[0:1], v[64:65], v[0:1]
	v_add_f64_e32 v[2:3], v[66:67], v[2:3]
	;; [unrolled: 1-line block ×3, first 2 shown]
	v_add_f64_e64 v[6:7], v[6:7], -v[130:131]
	s_delay_alu instid0(VALU_DEP_4) | instskip(NEXT) | instid1(VALU_DEP_4)
	v_add_f64_e32 v[0:1], v[68:69], v[0:1]
	v_add_f64_e32 v[2:3], v[60:61], v[2:3]
	v_mul_f64_e32 v[60:61], s[36:37], v[148:149]
	s_delay_alu instid0(VALU_DEP_3) | instskip(SKIP_1) | instid1(VALU_DEP_3)
	v_add_f64_e32 v[0:1], v[4:5], v[0:1]
	v_mul_f64_e32 v[4:5], s[36:37], v[138:139]
	v_add_f64_e32 v[60:61], v[150:151], v[60:61]
	v_add_f64_e32 v[2:3], v[6:7], v[2:3]
	s_delay_alu instid0(VALU_DEP_3) | instskip(NEXT) | instid1(VALU_DEP_3)
	v_add_f64_e64 v[4:5], v[4:5], -v[140:141]
	v_add_f64_e32 v[62:63], v[60:61], v[0:1]
	v_mul_lo_u16 v0, v243, 17
	s_delay_alu instid0(VALU_DEP_1) | instskip(NEXT) | instid1(VALU_DEP_1)
	v_and_b32_e32 v0, 0xffff, v0
	v_add_lshl_u32 v0, v241, v0, 4
	v_add_f64_e32 v[60:61], v[4:5], v[2:3]
	ds_store_b128 v0, v[28:31] offset:32
	ds_store_b128 v0, v[32:35] offset:48
	;; [unrolled: 1-line block ×15, first 2 shown]
	ds_store_b128 v0, v[12:15]
	ds_store_b128 v0, v[245:248] offset:256
.LBB0_7:
	s_or_b32 exec_lo, exec_lo, s33
	v_add_nc_u16 v8, v243, 0x55
	v_and_b32_e32 v0, 0xff, v243
	v_add_nc_u16 v9, v243, 0xaa
	v_add_co_u32 v2, null, 0x1a9, v243
	s_delay_alu instid0(VALU_DEP_4) | instskip(NEXT) | instid1(VALU_DEP_4)
	v_and_b32_e32 v1, 0xff, v8
	v_mul_lo_u16 v12, 0xf1, v0
	v_add_co_u32 v0, null, 0xff, v243
	v_and_b32_e32 v6, 0xff, v9
	s_delay_alu instid0(VALU_DEP_4) | instskip(NEXT) | instid1(VALU_DEP_4)
	v_mul_lo_u16 v10, 0xf1, v1
	v_lshrrev_b16 v27, 12, v12
	v_add_co_u32 v1, null, 0x154, v243
	v_and_b32_e32 v7, 0xffff, v0
	s_delay_alu instid0(VALU_DEP_4) | instskip(NEXT) | instid1(VALU_DEP_4)
	v_lshrrev_b16 v28, 12, v10
	v_mul_lo_u16 v3, v27, 17
	v_add_co_u32 v5, null, 0x1fe, v243
	v_and_b32_e32 v13, 0xffff, v1
	s_delay_alu instid0(VALU_DEP_4) | instskip(NEXT) | instid1(VALU_DEP_4)
	v_mul_lo_u16 v4, v28, 17
	v_sub_nc_u16 v3, v243, v3
	v_and_b32_e32 v14, 0xffff, v2
	v_mul_lo_u16 v11, 0xf1, v6
	v_mul_u32_u24_e32 v13, 0xf0f1, v13
	v_sub_nc_u16 v4, v8, v4
	v_and_b32_e32 v29, 0xff, v3
	v_and_b32_e32 v3, 0xffff, v5
	v_mul_u32_u24_e32 v14, 0xf0f1, v14
	v_lshrrev_b16 v31, 12, v11
	v_and_b32_e32 v30, 0xff, v4
	v_mul_u32_u24_e32 v4, 0xf0f1, v7
	v_lshlrev_b32_e32 v6, 4, v29
	v_mul_u32_u24_e32 v3, 0xf0f1, v3
	v_lshrrev_b32_e32 v33, 20, v13
	v_lshlrev_b32_e32 v7, 4, v30
	v_lshrrev_b32_e32 v32, 20, v4
	s_load_b128 s[4:7], s[4:5], 0x0
	global_wb scope:SCOPE_SE
	s_wait_dscnt 0x0
	s_wait_kmcnt 0x0
	s_barrier_signal -1
	s_barrier_wait -1
	global_inv scope:SCOPE_SE
	s_clause 0x1
	global_load_b128 v[45:48], v6, s[2:3]
	global_load_b128 v[41:44], v7, s[2:3]
	v_mul_lo_u16 v4, v31, 17
	v_lshrrev_b32_e32 v34, 20, v14
	v_mul_lo_u16 v6, v32, 17
	v_lshrrev_b32_e32 v35, 20, v3
	v_mul_lo_u16 v3, v33, 17
	v_sub_nc_u16 v4, v9, v4
	v_mul_lo_u16 v7, v34, 17
	v_sub_nc_u16 v36, v0, v6
	;; [unrolled: 2-line block ×3, first 2 shown]
	v_and_b32_e32 v38, 0xff, v4
	v_sub_nc_u16 v39, v2, v7
	v_and_b32_e32 v1, 0xffff, v36
	v_sub_nc_u16 v40, v5, v0
	v_and_b32_e32 v0, 0xffff, v37
	v_lshlrev_b32_e32 v2, 4, v38
	v_and_b32_e32 v3, 0xffff, v39
	v_lshlrev_b32_e32 v1, 4, v1
	;; [unrolled: 2-line block ×3, first 2 shown]
	global_load_b128 v[100:103], v2, s[2:3]
	v_add_lshl_u32 v204, v241, v243, 4
	global_load_b128 v[110:113], v1, s[2:3]
	v_lshlrev_b32_e32 v2, 4, v3
	v_lshlrev_b32_e32 v1, 4, v4
	s_clause 0x2
	global_load_b128 v[114:117], v0, s[2:3]
	global_load_b128 v[106:109], v2, s[2:3]
	global_load_b128 v[96:99], v1, s[2:3]
	ds_load_b128 v[13:16], v204 offset:9520
	ds_load_b128 v[17:20], v204 offset:10880
	;; [unrolled: 1-line block ×8, first 2 shown]
	v_cmp_gt_u16_e64 s0, 0x44, v243
	s_wait_loadcnt_dscnt 0x607
	v_mul_f64_e32 v[0:1], v[15:16], v[47:48]
	v_mul_f64_e32 v[2:3], v[13:14], v[47:48]
	s_wait_loadcnt_dscnt 0x506
	v_mul_f64_e32 v[4:5], v[19:20], v[43:44]
	v_mul_f64_e32 v[6:7], v[17:18], v[43:44]
	s_clause 0x1
	scratch_store_b128 off, v[45:48], off offset:24
	scratch_store_b128 off, v[41:44], off offset:8
	s_wait_loadcnt_dscnt 0x405
	v_mul_f64_e32 v[21:22], v[54:55], v[102:103]
	v_mul_f64_e32 v[23:24], v[52:53], v[102:103]
	s_wait_loadcnt_dscnt 0x304
	v_mul_f64_e32 v[25:26], v[58:59], v[112:113]
	v_mul_f64_e32 v[76:77], v[56:57], v[112:113]
	s_clause 0x1
	scratch_store_b128 off, v[100:103], off offset:72
	scratch_store_b128 off, v[110:113], off offset:88
	s_wait_loadcnt_dscnt 0x203
	v_mul_f64_e32 v[78:79], v[62:63], v[116:117]
	v_mul_f64_e32 v[80:81], v[60:61], v[116:117]
	s_wait_loadcnt_dscnt 0x102
	v_mul_f64_e32 v[82:83], v[66:67], v[108:109]
	v_mul_f64_e32 v[88:89], v[64:65], v[108:109]
	s_wait_loadcnt_dscnt 0x1
	v_mul_f64_e32 v[90:91], v[70:71], v[98:99]
	v_mul_f64_e32 v[92:93], v[68:69], v[98:99]
	s_clause 0x2
	scratch_store_b128 off, v[106:109], off offset:56
	scratch_store_b128 off, v[96:99], off offset:40
	;; [unrolled: 1-line block ×3, first 2 shown]
	v_fma_f64 v[0:1], v[13:14], v[45:46], -v[0:1]
	v_fma_f64 v[2:3], v[15:16], v[45:46], v[2:3]
	v_fma_f64 v[4:5], v[17:18], v[41:42], -v[4:5]
	v_fma_f64 v[6:7], v[19:20], v[41:42], v[6:7]
	;; [unrolled: 2-line block ×7, first 2 shown]
	ds_load_b128 v[13:16], v204
	ds_load_b128 v[17:20], v204 offset:1360
	ds_load_b128 v[52:55], v204 offset:2720
	;; [unrolled: 1-line block ×5, first 2 shown]
	global_wb scope:SCOPE_SE
	s_wait_storecnt_dscnt 0x0
	s_barrier_signal -1
	s_barrier_wait -1
	global_inv scope:SCOPE_SE
	v_add_f64_e64 v[68:69], v[13:14], -v[0:1]
	v_add_f64_e64 v[70:71], v[15:16], -v[2:3]
	;; [unrolled: 1-line block ×4, first 2 shown]
	v_mul_lo_u16 v0, v27, 34
	v_and_b32_e32 v1, 0xffff, v28
	v_and_b32_e32 v2, 0xffff, v31
	v_mad_u16 v3, v32, 34, v36
	v_mad_u16 v4, v33, 34, v37
	v_and_b32_e32 v0, 0xfe, v0
	v_mul_u32_u24_e32 v1, 34, v1
	v_add_f64_e64 v[80:81], v[52:53], -v[21:22]
	v_add_f64_e64 v[82:83], v[54:55], -v[23:24]
	;; [unrolled: 1-line block ×4, first 2 shown]
	v_mul_u32_u24_e32 v2, 34, v2
	v_add_nc_u32_e32 v0, v0, v29
	v_add_f64_e64 v[100:101], v[60:61], -v[100:101]
	v_add_f64_e64 v[102:103], v[62:63], -v[102:103]
	;; [unrolled: 1-line block ×6, first 2 shown]
	v_mad_u16 v5, v34, 34, v39
	v_mad_u16 v6, v35, 34, v40
	v_add_lshl_u32 v21, v241, v0, 4
	v_add_nc_u32_e32 v0, v1, v30
	v_add_nc_u32_e32 v1, v2, v38
	v_and_b32_e32 v2, 0xffff, v3
	v_and_b32_e32 v3, 0xffff, v4
	;; [unrolled: 1-line block ×4, first 2 shown]
	v_add_lshl_u32 v22, v241, v0, 4
	v_add_lshl_u32 v7, v241, v1, 4
	;; [unrolled: 1-line block ×6, first 2 shown]
	v_fma_f64 v[13:14], v[13:14], 2.0, -v[68:69]
	v_fma_f64 v[15:16], v[15:16], 2.0, -v[70:71]
	;; [unrolled: 1-line block ×4, first 2 shown]
	scratch_store_b32 off, v21, off offset:140 ; 4-byte Folded Spill
	v_fma_f64 v[52:53], v[52:53], 2.0, -v[80:81]
	v_fma_f64 v[54:55], v[54:55], 2.0, -v[82:83]
	;; [unrolled: 1-line block ×10, first 2 shown]
	ds_store_b128 v21, v[13:16]
	ds_store_b128 v21, v[68:71] offset:272
	ds_store_b128 v22, v[17:20]
	scratch_store_b32 off, v22, off offset:144 ; 4-byte Folded Spill
	ds_store_b128 v22, v[76:79] offset:272
	ds_store_b128 v7, v[52:55]
	scratch_store_b32 off, v7, off offset:136 ; 4-byte Folded Spill
	;; [unrolled: 3-line block ×6, first 2 shown]
	ds_store_b128 v0, v[104:107] offset:272
	global_wb scope:SCOPE_SE
	s_wait_storecnt_dscnt 0x0
	s_barrier_signal -1
	s_barrier_wait -1
	global_inv scope:SCOPE_SE
	ds_load_b128 v[100:103], v204
	ds_load_b128 v[96:99], v204 offset:1360
	ds_load_b128 v[128:131], v204 offset:3808
	ds_load_b128 v[112:115], v204 offset:5168
	ds_load_b128 v[132:135], v204 offset:7616
	ds_load_b128 v[116:119], v204 offset:8976
	ds_load_b128 v[136:139], v204 offset:11424
	ds_load_b128 v[120:123], v204 offset:12784
	ds_load_b128 v[140:143], v204 offset:15232
	ds_load_b128 v[124:127], v204 offset:16592
	s_and_saveexec_b32 s1, s0
	s_cbranch_execz .LBB0_9
; %bb.8:
	ds_load_b128 v[88:91], v204 offset:2720
	ds_load_b128 v[92:95], v204 offset:6528
	ds_load_b128 v[108:111], v204 offset:10336
	ds_load_b128 v[104:107], v204 offset:14144
	ds_load_b128 v[84:87], v204 offset:17952
.LBB0_9:
	s_wait_alu 0xfffe
	s_or_b32 exec_lo, exec_lo, s1
	v_lshrrev_b16 v144, 13, v12
	v_lshrrev_b16 v146, 13, v10
	;; [unrolled: 1-line block ×3, first 2 shown]
	s_mov_b32 s10, 0x134454ff
	s_mov_b32 s11, 0x3fee6f0e
	v_mul_lo_u16 v0, v144, 34
	v_mul_lo_u16 v1, v146, 34
	scratch_store_b32 off, v2, off          ; 4-byte Folded Spill
	v_mul_lo_u16 v2, v2, 34
	s_mov_b32 s15, 0xbfee6f0e
	v_sub_nc_u16 v0, v243, v0
	s_wait_alu 0xfffe
	s_mov_b32 s14, s10
	s_mov_b32 s16, 0x4755a5e
	;; [unrolled: 1-line block ×4, first 2 shown]
	v_and_b32_e32 v145, 0xff, v0
	v_sub_nc_u16 v0, v8, v1
	s_wait_alu 0xfffe
	s_mov_b32 s18, s16
	s_mov_b32 s20, 0x372fe950
	;; [unrolled: 1-line block ×3, first 2 shown]
	v_lshlrev_b32_e32 v1, 6, v145
	v_and_b32_e32 v28, 0xff, v0
	v_sub_nc_u16 v0, v9, v2
	s_clause 0x1
	global_load_b128 v[45:48], v1, s[2:3] offset:288
	global_load_b128 v[79:82], v1, s[2:3] offset:272
	v_lshlrev_b32_e32 v2, 6, v28
	v_and_b32_e32 v0, 0xff, v0
	s_clause 0x4
	global_load_b128 v[71:74], v1, s[2:3] offset:304
	global_load_b128 v[75:78], v1, s[2:3] offset:320
	;; [unrolled: 1-line block ×5, first 2 shown]
	scratch_store_b32 off, v0, off offset:4 ; 4-byte Folded Spill
	v_lshlrev_b32_e32 v0, 6, v0
	s_clause 0x4
	global_load_b128 v[57:60], v2, s[2:3] offset:320
	global_load_b128 v[33:36], v0, s[2:3] offset:288
	;; [unrolled: 1-line block ×5, first 2 shown]
	s_wait_loadcnt_dscnt 0xb05
	v_mul_f64_e32 v[2:3], v[134:135], v[47:48]
	s_wait_loadcnt 0xa
	v_mul_f64_e32 v[0:1], v[130:131], v[81:82]
	v_mul_f64_e32 v[6:7], v[128:129], v[81:82]
	;; [unrolled: 1-line block ×3, first 2 shown]
	s_wait_loadcnt_dscnt 0x903
	v_mul_f64_e32 v[4:5], v[138:139], v[73:74]
	s_wait_loadcnt_dscnt 0x801
	v_mul_f64_e32 v[8:9], v[142:143], v[77:78]
	v_mul_f64_e32 v[12:13], v[136:137], v[73:74]
	;; [unrolled: 1-line block ×3, first 2 shown]
	s_wait_loadcnt 0x7
	v_mul_f64_e32 v[16:17], v[114:115], v[63:64]
	s_wait_loadcnt 0x6
	v_mul_f64_e32 v[18:19], v[118:119], v[55:56]
	;; [unrolled: 2-line block ×3, first 2 shown]
	v_mul_f64_e32 v[22:23], v[112:113], v[63:64]
	s_wait_loadcnt_dscnt 0x400
	v_mul_f64_e32 v[24:25], v[126:127], v[59:60]
	v_mul_f64_e32 v[26:27], v[116:117], v[55:56]
	;; [unrolled: 1-line block ×4, first 2 shown]
	s_wait_loadcnt 0x3
	v_mul_f64_e32 v[151:152], v[110:111], v[35:36]
	v_mul_f64_e32 v[153:154], v[108:109], v[35:36]
	s_wait_loadcnt 0x2
	v_mul_f64_e32 v[155:156], v[106:107], v[31:32]
	v_mul_f64_e32 v[157:158], v[104:105], v[31:32]
	s_wait_loadcnt 0x1
	v_mul_f64_e32 v[159:160], v[94:95], v[43:44]
	v_mul_f64_e32 v[161:162], v[92:93], v[43:44]
	s_wait_loadcnt 0x0
	v_mul_f64_e32 v[163:164], v[86:87], v[39:40]
	v_mul_f64_e32 v[165:166], v[84:85], v[39:40]
	s_clause 0x8
	scratch_store_b128 off, v[45:48], off offset:148
	scratch_store_b128 off, v[49:52], off offset:164
	;; [unrolled: 1-line block ×9, first 2 shown]
	global_wb scope:SCOPE_SE
	s_wait_storecnt 0x0
	s_barrier_signal -1
	s_barrier_wait -1
	global_inv scope:SCOPE_SE
	v_fma_f64 v[2:3], v[132:133], v[45:46], -v[2:3]
	v_fma_f64 v[0:1], v[128:129], v[79:80], -v[0:1]
	v_fma_f64 v[6:7], v[130:131], v[79:80], v[6:7]
	v_fma_f64 v[130:131], v[134:135], v[45:46], v[10:11]
	v_fma_f64 v[4:5], v[136:137], v[71:72], -v[4:5]
	v_fma_f64 v[128:129], v[140:141], v[75:76], -v[8:9]
	v_fma_f64 v[132:133], v[138:139], v[71:72], v[12:13]
	v_fma_f64 v[134:135], v[142:143], v[75:76], v[14:15]
	v_fma_f64 v[16:17], v[112:113], v[61:62], -v[16:17]
	v_fma_f64 v[18:19], v[116:117], v[53:54], -v[18:19]
	;; [unrolled: 1-line block ×3, first 2 shown]
	v_fma_f64 v[22:23], v[114:115], v[61:62], v[22:23]
	v_fma_f64 v[24:25], v[124:125], v[57:58], -v[24:25]
	v_fma_f64 v[26:27], v[118:119], v[53:54], v[26:27]
	v_fma_f64 v[112:113], v[122:123], v[49:50], v[147:148]
	;; [unrolled: 1-line block ×3, first 2 shown]
	v_fma_f64 v[12:13], v[108:109], v[33:34], -v[151:152]
	v_fma_f64 v[14:15], v[110:111], v[33:34], v[153:154]
	v_fma_f64 v[8:9], v[104:105], v[29:30], -v[155:156]
	v_fma_f64 v[10:11], v[106:107], v[29:30], v[157:158]
	;; [unrolled: 2-line block ×4, first 2 shown]
	v_add_f64_e32 v[136:137], v[100:101], v[0:1]
	v_add_f64_e64 v[142:143], v[0:1], -v[2:3]
	v_add_f64_e64 v[149:150], v[2:3], -v[0:1]
	v_add_f64_e32 v[104:105], v[2:3], v[4:5]
	v_add_f64_e32 v[106:107], v[0:1], v[128:129]
	;; [unrolled: 1-line block ×4, first 2 shown]
	v_add_f64_e64 v[138:139], v[6:7], -v[134:135]
	v_add_f64_e64 v[140:141], v[130:131], -v[132:133]
	v_add_f64_e32 v[114:115], v[18:19], v[20:21]
	v_add_f64_e32 v[153:154], v[102:103], v[6:7]
	;; [unrolled: 1-line block ×3, first 2 shown]
	v_add_f64_e64 v[0:1], v[0:1], -v[128:129]
	v_add_f64_e32 v[120:121], v[26:27], v[112:113]
	v_add_f64_e32 v[122:123], v[22:23], v[118:119]
	;; [unrolled: 1-line block ×6, first 2 shown]
	v_add_f64_e64 v[169:170], v[22:23], -v[118:119]
	v_add_f64_e64 v[171:172], v[26:27], -v[112:113]
	;; [unrolled: 1-line block ×19, first 2 shown]
	v_add_f64_e32 v[2:3], v[136:137], v[2:3]
	v_add_f64_e64 v[185:186], v[112:113], -v[118:119]
	v_fma_f64 v[161:162], v[104:105], -0.5, v[100:101]
	v_fma_f64 v[165:166], v[106:107], -0.5, v[100:101]
	;; [unrolled: 1-line block ×4, first 2 shown]
	v_add_f64_e64 v[104:105], v[14:15], -v[10:11]
	v_add_f64_e64 v[106:107], v[12:13], -v[8:9]
	v_fma_f64 v[114:115], v[114:115], -0.5, v[96:97]
	v_add_f64_e32 v[130:131], v[153:154], v[130:131]
	v_fma_f64 v[116:117], v[116:117], -0.5, v[96:97]
	v_add_f64_e64 v[96:97], v[94:95], -v[86:87]
	v_fma_f64 v[120:121], v[120:121], -0.5, v[98:99]
	v_fma_f64 v[122:123], v[122:123], -0.5, v[98:99]
	v_add_f64_e64 v[98:99], v[92:93], -v[84:85]
	v_add_f64_e32 v[26:27], v[159:160], v[26:27]
	v_fma_f64 v[100:101], v[124:125], -0.5, v[88:89]
	v_fma_f64 v[102:103], v[126:127], -0.5, v[90:91]
	v_add_f64_e64 v[124:125], v[132:133], -v[134:135]
	v_add_f64_e64 v[126:127], v[16:17], -v[18:19]
	;; [unrolled: 1-line block ×3, first 2 shown]
	v_add_f64_e32 v[18:19], v[157:158], v[18:19]
	v_add_f64_e32 v[142:143], v[142:143], v[147:148]
	;; [unrolled: 1-line block ×7, first 2 shown]
	v_fma_f64 v[136:137], v[138:139], s[10:11], v[161:162]
	v_fma_f64 v[153:154], v[138:139], s[14:15], v[161:162]
	;; [unrolled: 1-line block ×18, first 2 shown]
	v_add_f64_e32 v[6:7], v[6:7], v[124:125]
	v_add_f64_e32 v[151:152], v[126:127], v[177:178]
	;; [unrolled: 1-line block ×9, first 2 shown]
	v_fma_f64 v[26:27], v[140:141], s[16:17], v[136:137]
	s_wait_alu 0xfffe
	v_fma_f64 v[124:125], v[140:141], s[18:19], v[153:154]
	v_fma_f64 v[126:127], v[138:139], s[16:17], v[157:158]
	;; [unrolled: 1-line block ×17, first 2 shown]
	v_add_f64_e32 v[114:115], v[4:5], v[134:135]
	v_add_f64_e32 v[116:117], v[18:19], v[24:25]
	v_add_f64_e32 v[118:119], v[20:21], v[118:119]
	v_fma_f64 v[120:121], v[142:143], s[20:21], v[26:27]
	v_fma_f64 v[124:125], v[142:143], s[20:21], v[124:125]
	;; [unrolled: 1-line block ×18, first 2 shown]
	v_and_b32_e32 v0, 0xffff, v144
	v_and_b32_e32 v1, 0xffff, v146
	s_delay_alu instid0(VALU_DEP_2) | instskip(NEXT) | instid1(VALU_DEP_2)
	v_mul_u32_u24_e32 v0, 0xaa, v0
	v_mul_u32_u24_e32 v1, 0xaa, v1
	s_delay_alu instid0(VALU_DEP_2) | instskip(NEXT) | instid1(VALU_DEP_2)
	v_add_nc_u32_e32 v0, v0, v145
	v_add_nc_u32_e32 v1, v1, v28
	s_delay_alu instid0(VALU_DEP_2) | instskip(NEXT) | instid1(VALU_DEP_2)
	v_add_lshl_u32 v2, v241, v0, 4
	v_add_lshl_u32 v0, v241, v1, 4
	ds_store_b128 v2, v[112:115]
	ds_store_b128 v2, v[120:123] offset:544
	ds_store_b128 v2, v[128:131] offset:1088
	;; [unrolled: 1-line block ×3, first 2 shown]
	scratch_store_b32 off, v2, off offset:232 ; 4-byte Folded Spill
	ds_store_b128 v2, v[124:127] offset:2176
	ds_store_b128 v0, v[116:119]
	ds_store_b128 v0, v[140:143] offset:544
	ds_store_b128 v0, v[151:154] offset:1088
	;; [unrolled: 1-line block ×3, first 2 shown]
	scratch_store_b32 off, v0, off offset:228 ; 4-byte Folded Spill
	ds_store_b128 v0, v[147:150] offset:2176
	s_and_saveexec_b32 s1, s0
	s_cbranch_execz .LBB0_11
; %bb.10:
	v_add_f64_e32 v[0:1], v[94:95], v[86:87]
	v_add_f64_e32 v[6:7], v[90:91], v[94:95]
	v_mul_f64_e32 v[16:17], s[10:11], v[96:97]
	v_add_f64_e32 v[2:3], v[92:93], v[84:85]
	v_add_f64_e64 v[24:25], v[14:15], -v[94:95]
	v_add_f64_e64 v[26:27], v[10:11], -v[86:87]
	v_add_f64_e32 v[18:19], v[88:89], v[92:93]
	v_mul_f64_e32 v[4:5], s[10:11], v[98:99]
	v_mul_f64_e32 v[20:21], s[16:17], v[104:105]
	;; [unrolled: 1-line block ×4, first 2 shown]
	v_fma_f64 v[0:1], v[0:1], -0.5, v[90:91]
	v_add_f64_e32 v[6:7], v[6:7], v[14:15]
	v_add_f64_e32 v[14:15], v[100:101], v[16:17]
	v_fma_f64 v[2:3], v[2:3], -0.5, v[88:89]
	v_add_f64_e64 v[88:89], v[12:13], -v[92:93]
	v_add_f64_e64 v[90:91], v[8:9], -v[84:85]
	v_add_f64_e32 v[24:25], v[24:25], v[26:27]
	v_add_f64_e32 v[12:13], v[18:19], v[12:13]
	v_add_f64_e64 v[4:5], v[102:103], -v[4:5]
	v_mul_f64_e32 v[92:93], s[20:21], v[108:109]
	v_fma_f64 v[16:17], v[106:107], s[14:15], v[0:1]
	v_fma_f64 v[0:1], v[106:107], s[10:11], v[0:1]
	v_add_f64_e32 v[6:7], v[6:7], v[10:11]
	v_fma_f64 v[18:19], v[104:105], s[14:15], v[2:3]
	v_fma_f64 v[2:3], v[104:105], s[10:11], v[2:3]
	v_add_f64_e32 v[26:27], v[88:89], v[90:91]
	v_add_f64_e32 v[20:21], v[20:21], v[14:15]
	;; [unrolled: 1-line block ×3, first 2 shown]
	v_add_f64_e64 v[4:5], v[4:5], -v[22:23]
	v_fma_f64 v[16:17], v[98:99], s[16:17], v[16:17]
	v_fma_f64 v[0:1], v[98:99], s[18:19], v[0:1]
	v_add_f64_e32 v[14:15], v[6:7], v[86:87]
	v_fma_f64 v[18:19], v[96:97], s[16:17], v[18:19]
	v_fma_f64 v[2:3], v[96:97], s[18:19], v[2:3]
	v_add_f64_e32 v[8:9], v[92:93], v[20:21]
	v_add_f64_e32 v[12:13], v[12:13], v[84:85]
	;; [unrolled: 1-line block ×3, first 2 shown]
	v_fma_f64 v[86:87], v[24:25], s[20:21], v[16:17]
	v_fma_f64 v[90:91], v[24:25], s[20:21], v[0:1]
	s_clause 0x1
	scratch_load_b32 v0, off, off
	scratch_load_b32 v1, off, off offset:4
	v_fma_f64 v[88:89], v[26:27], s[20:21], v[18:19]
	v_fma_f64 v[84:85], v[26:27], s[20:21], v[2:3]
	s_wait_loadcnt 0x1
	v_and_b32_e32 v0, 0xffff, v0
	s_delay_alu instid0(VALU_DEP_1) | instskip(SKIP_1) | instid1(VALU_DEP_1)
	v_mul_u32_u24_e32 v0, 0xaa, v0
	s_wait_loadcnt 0x0
	v_add_nc_u32_e32 v0, v0, v1
	s_delay_alu instid0(VALU_DEP_1)
	v_add_lshl_u32 v0, v241, v0, 4
	ds_store_b128 v0, v[12:15]
	ds_store_b128 v0, v[8:11] offset:544
	ds_store_b128 v0, v[88:91] offset:1088
	;; [unrolled: 1-line block ×4, first 2 shown]
.LBB0_11:
	s_wait_alu 0xfffe
	s_or_b32 exec_lo, exec_lo, s1
	v_mad_co_u64_u32 v[0:1], null, 0x60, v243, s[2:3]
	global_wb scope:SCOPE_SE
	s_wait_storecnt_dscnt 0x0
	s_barrier_signal -1
	s_barrier_wait -1
	global_inv scope:SCOPE_SE
	s_mov_b32 s2, 0x37e14327
	s_mov_b32 s10, 0x36b3c0b5
	s_clause 0xb
	global_load_b128 v[32:35], v[0:1], off offset:2448
	global_load_b128 v[28:31], v[0:1], off offset:2464
	;; [unrolled: 1-line block ×12, first 2 shown]
	ds_load_b128 v[8:11], v204 offset:2720
	ds_load_b128 v[12:15], v204 offset:5440
	;; [unrolled: 1-line block ×12, first 2 shown]
	s_mov_b32 s14, 0xe976ee23
	s_mov_b32 s16, 0x429ad128
	;; [unrolled: 1-line block ×11, first 2 shown]
	s_wait_alu 0xfffe
	s_mov_b32 s22, s20
	s_wait_loadcnt_dscnt 0xb0b
	v_mul_f64_e32 v[0:1], v[10:11], v[34:35]
	v_mul_f64_e32 v[2:3], v[8:9], v[34:35]
	s_wait_loadcnt_dscnt 0xa0a
	v_mul_f64_e32 v[4:5], v[14:15], v[30:31]
	v_mul_f64_e32 v[6:7], v[12:13], v[30:31]
	;; [unrolled: 3-line block ×9, first 2 shown]
	s_wait_loadcnt 0x2
	v_mul_f64_e32 v[192:193], v[162:163], v[122:123]
	v_mul_f64_e32 v[194:195], v[160:161], v[122:123]
	s_clause 0x1
	scratch_store_b128 off, v[32:35], off offset:252
	scratch_store_b128 off, v[28:31], off offset:236
	v_fma_f64 v[0:1], v[8:9], v[32:33], -v[0:1]
	v_fma_f64 v[2:3], v[10:11], v[32:33], v[2:3]
	v_fma_f64 v[4:5], v[12:13], v[28:29], -v[4:5]
	v_fma_f64 v[6:7], v[14:15], v[28:29], v[6:7]
	;; [unrolled: 2-line block ×4, first 2 shown]
	s_wait_loadcnt_dscnt 0x101
	v_mul_f64_e32 v[16:17], v[170:171], v[114:115]
	v_mul_f64_e32 v[18:19], v[168:169], v[114:115]
	s_wait_loadcnt_dscnt 0x0
	v_mul_f64_e32 v[20:21], v[174:175], v[110:111]
	v_mul_f64_e32 v[22:23], v[172:173], v[110:111]
	v_fma_f64 v[24:25], v[144:145], v[104:105], -v[24:25]
	v_fma_f64 v[26:27], v[146:147], v[104:105], v[26:27]
	v_fma_f64 v[136:137], v[148:149], v[100:101], -v[176:177]
	v_fma_f64 v[138:139], v[150:151], v[100:101], v[178:179]
	;; [unrolled: 2-line block ×6, first 2 shown]
	v_add_f64_e32 v[156:157], v[0:1], v[8:9]
	v_add_f64_e32 v[158:159], v[2:3], v[10:11]
	;; [unrolled: 1-line block ×4, first 2 shown]
	v_fma_f64 v[16:17], v[168:169], v[112:113], -v[16:17]
	v_fma_f64 v[18:19], v[170:171], v[112:113], v[18:19]
	v_fma_f64 v[20:21], v[172:173], v[108:109], -v[20:21]
	v_fma_f64 v[22:23], v[174:175], v[108:109], v[22:23]
	v_add_f64_e64 v[4:5], v[4:5], -v[12:13]
	v_add_f64_e64 v[6:7], v[6:7], -v[14:15]
	;; [unrolled: 1-line block ×4, first 2 shown]
	v_add_f64_e32 v[164:165], v[24:25], v[140:141]
	v_add_f64_e32 v[166:167], v[26:27], v[142:143]
	;; [unrolled: 1-line block ×4, first 2 shown]
	v_add_f64_e64 v[136:137], v[136:137], -v[144:145]
	v_add_f64_e64 v[138:139], v[138:139], -v[146:147]
	v_add_f64_e32 v[172:173], v[148:149], v[152:153]
	v_add_f64_e32 v[174:175], v[150:151], v[154:155]
	v_add_f64_e64 v[148:149], v[152:153], -v[148:149]
	v_add_f64_e64 v[150:151], v[154:155], -v[150:151]
	ds_load_b128 v[8:11], v204
	ds_load_b128 v[12:15], v204 offset:1360
	v_add_f64_e32 v[152:153], v[160:161], v[156:157]
	v_add_f64_e32 v[154:155], v[162:163], v[158:159]
	;; [unrolled: 1-line block ×4, first 2 shown]
	v_add_f64_e64 v[16:17], v[20:21], -v[16:17]
	v_add_f64_e64 v[18:19], v[22:23], -v[18:19]
	;; [unrolled: 1-line block ×6, first 2 shown]
	v_add_f64_e32 v[24:25], v[168:169], v[164:165]
	v_add_f64_e32 v[26:27], v[170:171], v[166:167]
	v_add_f64_e64 v[140:141], v[156:157], -v[172:173]
	v_add_f64_e64 v[142:143], v[158:159], -v[174:175]
	;; [unrolled: 1-line block ×8, first 2 shown]
	v_add_f64_e32 v[4:5], v[148:149], v[4:5]
	v_add_f64_e32 v[6:7], v[150:151], v[6:7]
	v_add_f64_e64 v[148:149], v[0:1], -v[148:149]
	v_add_f64_e64 v[150:151], v[2:3], -v[150:151]
	v_add_f64_e32 v[152:153], v[172:173], v[152:153]
	v_add_f64_e32 v[154:155], v[174:175], v[154:155]
	v_add_f64_e64 v[172:173], v[164:165], -v[144:145]
	v_add_f64_e64 v[174:175], v[166:167], -v[146:147]
	v_add_f64_e64 v[188:189], v[16:17], -v[136:137]
	v_add_f64_e64 v[190:191], v[18:19], -v[138:139]
	v_add_f64_e64 v[192:193], v[136:137], -v[20:21]
	v_add_f64_e64 v[194:195], v[138:139], -v[22:23]
	v_add_f64_e32 v[136:137], v[16:17], v[136:137]
	v_add_f64_e32 v[138:139], v[18:19], v[138:139]
	;; [unrolled: 1-line block ×4, first 2 shown]
	v_add_f64_e64 v[144:145], v[144:145], -v[168:169]
	v_add_f64_e64 v[146:147], v[146:147], -v[170:171]
	v_mul_f64_e32 v[196:197], s[2:3], v[140:141]
	v_mul_f64_e32 v[198:199], s[2:3], v[142:143]
	v_mul_f64_e32 v[200:201], s[10:11], v[176:177]
	v_mul_f64_e32 v[202:203], s[10:11], v[178:179]
	v_mul_f64_e32 v[180:181], s[14:15], v[180:181]
	v_mul_f64_e32 v[182:183], s[14:15], v[182:183]
	v_mul_f64_e32 v[205:206], s[16:17], v[184:185]
	v_mul_f64_e32 v[207:208], s[16:17], v[186:187]
	v_add_f64_e32 v[0:1], v[4:5], v[0:1]
	v_add_f64_e32 v[2:3], v[6:7], v[2:3]
	s_wait_dscnt 0x1
	v_add_f64_e32 v[140:141], v[8:9], v[152:153]
	v_add_f64_e32 v[142:143], v[10:11], v[154:155]
	v_add_f64_e64 v[8:9], v[20:21], -v[16:17]
	v_add_f64_e64 v[10:11], v[22:23], -v[18:19]
	v_mul_f64_e32 v[16:17], s[2:3], v[172:173]
	v_mul_f64_e32 v[18:19], s[2:3], v[174:175]
	;; [unrolled: 1-line block ×6, first 2 shown]
	s_mov_b32 s2, 0x5476071b
	s_mov_b32 s3, 0x3fe77f67
	s_wait_dscnt 0x0
	v_add_f64_e32 v[160:161], v[12:13], v[24:25]
	v_add_f64_e32 v[162:163], v[14:15], v[26:27]
	v_add_f64_e64 v[12:13], v[168:169], -v[164:165]
	v_add_f64_e64 v[14:15], v[170:171], -v[166:167]
	v_mul_f64_e32 v[164:165], s[10:11], v[144:145]
	v_mul_f64_e32 v[166:167], s[10:11], v[146:147]
	s_mov_b32 s15, 0xbfe77f67
	s_wait_alu 0xfffe
	s_mov_b32 s14, s2
	v_add_f64_e32 v[4:5], v[136:137], v[20:21]
	v_add_f64_e32 v[6:7], v[138:139], v[22:23]
	v_fma_f64 v[20:21], v[176:177], s[10:11], v[196:197]
	v_fma_f64 v[22:23], v[178:179], s[10:11], v[198:199]
	v_fma_f64 v[136:137], v[156:157], s[2:3], -v[200:201]
	v_fma_f64 v[138:139], v[158:159], s[2:3], -v[202:203]
	v_fma_f64 v[168:169], v[148:149], s[20:21], v[180:181]
	v_fma_f64 v[170:171], v[150:151], s[20:21], v[182:183]
	v_fma_f64 v[176:177], v[184:185], s[16:17], -v[180:181]
	v_fma_f64 v[178:179], v[186:187], s[16:17], -v[182:183]
	;; [unrolled: 1-line block ×4, first 2 shown]
	s_wait_alu 0xfffe
	v_fma_f64 v[156:157], v[156:157], s[14:15], -v[196:197]
	v_fma_f64 v[158:159], v[158:159], s[14:15], -v[198:199]
	v_fma_f64 v[152:153], v[152:153], s[18:19], v[140:141]
	v_fma_f64 v[154:155], v[154:155], s[18:19], v[142:143]
	;; [unrolled: 1-line block ×6, first 2 shown]
	v_fma_f64 v[172:173], v[192:193], s[16:17], -v[172:173]
	v_fma_f64 v[174:175], v[194:195], s[16:17], -v[174:175]
	v_fma_f64 v[8:9], v[8:9], s[22:23], -v[188:189]
	v_fma_f64 v[10:11], v[10:11], s[22:23], -v[190:191]
	v_fma_f64 v[24:25], v[24:25], s[18:19], v[160:161]
	v_fma_f64 v[26:27], v[26:27], s[18:19], v[162:163]
	v_fma_f64 v[16:17], v[12:13], s[14:15], -v[16:17]
	v_fma_f64 v[18:19], v[14:15], s[14:15], -v[18:19]
	;; [unrolled: 1-line block ×4, first 2 shown]
	s_mov_b32 s2, 0x37c3f68c
	s_mov_b32 s3, 0x3fdc38aa
	s_wait_alu 0xfffe
	v_fma_f64 v[164:165], v[0:1], s[2:3], v[168:169]
	v_fma_f64 v[166:167], v[2:3], s[2:3], v[170:171]
	v_fma_f64 v[168:169], v[0:1], s[2:3], v[176:177]
	v_fma_f64 v[170:171], v[2:3], s[2:3], v[178:179]
	v_fma_f64 v[0:1], v[0:1], s[2:3], v[148:149]
	v_fma_f64 v[2:3], v[2:3], s[2:3], v[150:151]
	v_add_f64_e32 v[20:21], v[20:21], v[152:153]
	v_add_f64_e32 v[22:23], v[22:23], v[154:155]
	;; [unrolled: 1-line block ×6, first 2 shown]
	v_fma_f64 v[196:197], v[4:5], s[2:3], v[180:181]
	v_fma_f64 v[198:199], v[6:7], s[2:3], v[182:183]
	;; [unrolled: 1-line block ×6, first 2 shown]
	v_add_f64_e32 v[8:9], v[144:145], v[24:25]
	v_add_f64_e32 v[10:11], v[146:147], v[26:27]
	;; [unrolled: 1-line block ×7, first 2 shown]
	v_add_f64_e64 v[190:191], v[22:23], -v[164:165]
	v_add_f64_e32 v[192:193], v[2:3], v[148:149]
	v_add_f64_e64 v[194:195], v[150:151], -v[0:1]
	v_add_f64_e64 v[184:185], v[136:137], -v[170:171]
	v_add_f64_e32 v[186:187], v[168:169], v[138:139]
	v_add_f64_e32 v[180:181], v[170:171], v[136:137]
	v_add_f64_e64 v[182:183], v[138:139], -v[168:169]
	v_add_f64_e64 v[176:177], v[148:149], -v[2:3]
	v_add_f64_e32 v[178:179], v[0:1], v[150:151]
	v_add_f64_e64 v[172:173], v[20:21], -v[166:167]
	v_add_f64_e32 v[174:175], v[164:165], v[22:23]
	v_add_f64_e32 v[168:169], v[198:199], v[8:9]
	v_add_f64_e64 v[170:171], v[10:11], -v[196:197]
	v_add_f64_e32 v[164:165], v[6:7], v[16:17]
	v_add_f64_e64 v[166:167], v[18:19], -v[4:5]
	v_add_f64_e64 v[156:157], v[12:13], -v[152:153]
	v_add_f64_e32 v[158:159], v[154:155], v[14:15]
	v_add_f64_e32 v[152:153], v[152:153], v[12:13]
	v_add_f64_e64 v[154:155], v[14:15], -v[154:155]
	v_add_f64_e64 v[148:149], v[16:17], -v[6:7]
	v_add_f64_e32 v[150:151], v[4:5], v[18:19]
	v_add_f64_e64 v[144:145], v[8:9], -v[198:199]
	v_add_f64_e32 v[146:147], v[196:197], v[10:11]
	v_lshl_add_u32 v14, v243, 4, v244
	ds_store_b128 v14, v[140:143]
	ds_store_b128 v14, v[160:163] offset:1360
	ds_store_b128 v14, v[188:191] offset:2720
	;; [unrolled: 1-line block ×13, first 2 shown]
	global_wb scope:SCOPE_SE
	s_wait_storecnt_dscnt 0x0
	s_barrier_signal -1
	s_barrier_wait -1
	global_inv scope:SCOPE_SE
	s_and_saveexec_b32 s1, vcc_lo
	s_cbranch_execz .LBB0_13
; %bb.12:
	global_load_b128 v[136:139], v255, s[8:9] offset:19040
	s_add_nc_u64 s[2:3], s[8:9], 0x4a60
	s_clause 0x4
	global_load_b128 v[196:199], v255, s[2:3] offset:1120
	global_load_b128 v[200:203], v255, s[2:3] offset:2240
	;; [unrolled: 1-line block ×5, first 2 shown]
	ds_load_b128 v[209:212], v14
	ds_load_b128 v[217:220], v14 offset:6720
	v_dual_mov_b32 v27, v242 :: v_dual_mov_b32 v4, v243
	v_dual_mov_b32 v5, v244 :: v_dual_mov_b32 v28, v245
	;; [unrolled: 1-line block ×5, first 2 shown]
	v_mov_b32_e32 v35, v252
	ds_load_b128 v[15:18], v14 offset:13440
	ds_load_b128 v[19:22], v14 offset:14560
	;; [unrolled: 1-line block ×7, first 2 shown]
	s_wait_loadcnt_dscnt 0x508
	v_mul_f64_e32 v[0:1], v[211:212], v[138:139]
	v_mul_f64_e32 v[2:3], v[209:210], v[138:139]
	s_delay_alu instid0(VALU_DEP_2) | instskip(NEXT) | instid1(VALU_DEP_2)
	v_fma_f64 v[209:210], v[209:210], v[136:137], -v[0:1]
	v_fma_f64 v[211:212], v[211:212], v[136:137], v[2:3]
	ds_load_b128 v[136:139], v14 offset:1120
	s_wait_loadcnt_dscnt 0x400
	v_mul_f64_e32 v[0:1], v[138:139], v[198:199]
	v_mul_f64_e32 v[2:3], v[136:137], v[198:199]
	s_delay_alu instid0(VALU_DEP_2) | instskip(NEXT) | instid1(VALU_DEP_2)
	v_fma_f64 v[136:137], v[136:137], v[196:197], -v[0:1]
	v_fma_f64 v[138:139], v[138:139], v[196:197], v[2:3]
	ds_load_b128 v[196:199], v14 offset:2240
	;; [unrolled: 7-line block ×5, first 2 shown]
	s_wait_loadcnt_dscnt 0x0
	v_mul_f64_e32 v[0:1], v[207:208], v[215:216]
	v_mul_f64_e32 v[2:3], v[205:206], v[215:216]
	s_delay_alu instid0(VALU_DEP_2) | instskip(NEXT) | instid1(VALU_DEP_2)
	v_fma_f64 v[205:206], v[205:206], v[213:214], -v[0:1]
	v_fma_f64 v[207:208], v[207:208], v[213:214], v[2:3]
	global_load_b128 v[213:216], v255, s[2:3] offset:6720
	s_wait_loadcnt 0x0
	v_mul_f64_e32 v[0:1], v[219:220], v[215:216]
	v_mul_f64_e32 v[2:3], v[217:218], v[215:216]
	s_delay_alu instid0(VALU_DEP_2) | instskip(NEXT) | instid1(VALU_DEP_2)
	v_fma_f64 v[215:216], v[217:218], v[213:214], -v[0:1]
	v_fma_f64 v[217:218], v[219:220], v[213:214], v[2:3]
	global_load_b128 v[219:222], v255, s[2:3] offset:7840
	s_wait_loadcnt 0x0
	;; [unrolled: 7-line block ×6, first 2 shown]
	v_mul_f64_e32 v[0:1], v[249:250], v[245:246]
	v_mul_f64_e32 v[2:3], v[247:248], v[245:246]
	s_delay_alu instid0(VALU_DEP_2) | instskip(NEXT) | instid1(VALU_DEP_2)
	v_fma_f64 v[245:246], v[247:248], v[243:244], -v[0:1]
	v_fma_f64 v[247:248], v[249:250], v[243:244], v[2:3]
	global_load_b128 v[249:252], v255, s[2:3] offset:13440
	v_dual_mov_b32 v244, v5 :: v_dual_mov_b32 v243, v4
	s_wait_loadcnt 0x0
	v_mul_f64_e32 v[0:1], v[17:18], v[251:252]
	v_mul_f64_e32 v[2:3], v[15:16], v[251:252]
	s_delay_alu instid0(VALU_DEP_2) | instskip(NEXT) | instid1(VALU_DEP_2)
	v_fma_f64 v[15:16], v[15:16], v[249:250], -v[0:1]
	v_fma_f64 v[17:18], v[17:18], v[249:250], v[2:3]
	global_load_b128 v[249:252], v255, s[2:3] offset:14560
	s_wait_loadcnt 0x0
	v_mul_f64_e32 v[0:1], v[21:22], v[251:252]
	v_mul_f64_e32 v[2:3], v[19:20], v[251:252]
	s_delay_alu instid0(VALU_DEP_2) | instskip(NEXT) | instid1(VALU_DEP_2)
	v_fma_f64 v[19:20], v[19:20], v[249:250], -v[0:1]
	v_fma_f64 v[21:22], v[21:22], v[249:250], v[2:3]
	global_load_b128 v[249:252], v255, s[2:3] offset:15680
	ds_load_b128 v[0:3], v14 offset:15680
	s_wait_loadcnt_dscnt 0x0
	v_mul_f64_e32 v[4:5], v[2:3], v[251:252]
	v_mul_f64_e32 v[6:7], v[0:1], v[251:252]
	s_delay_alu instid0(VALU_DEP_2) | instskip(NEXT) | instid1(VALU_DEP_2)
	v_fma_f64 v[0:1], v[0:1], v[249:250], -v[4:5]
	v_fma_f64 v[2:3], v[2:3], v[249:250], v[6:7]
	global_load_b128 v[249:252], v255, s[2:3] offset:16800
	ds_load_b128 v[4:7], v14 offset:16800
	s_wait_loadcnt_dscnt 0x0
	v_mul_f64_e32 v[8:9], v[6:7], v[251:252]
	v_mul_f64_e32 v[23:24], v[4:5], v[251:252]
	s_delay_alu instid0(VALU_DEP_2) | instskip(NEXT) | instid1(VALU_DEP_2)
	v_fma_f64 v[4:5], v[4:5], v[249:250], -v[8:9]
	v_fma_f64 v[6:7], v[6:7], v[249:250], v[23:24]
	global_load_b128 v[249:252], v255, s[2:3] offset:17920
	ds_load_b128 v[23:26], v14 offset:17920
	ds_store_b128 v14, v[209:212]
	ds_store_b128 v14, v[136:139] offset:1120
	ds_store_b128 v14, v[196:199] offset:2240
	;; [unrolled: 1-line block ×11, first 2 shown]
	v_dual_mov_b32 v248, v31 :: v_dual_mov_b32 v247, v30
	v_dual_mov_b32 v246, v29 :: v_dual_mov_b32 v245, v28
	v_mov_b32_e32 v242, v27
	s_wait_loadcnt_dscnt 0xc
	v_mul_f64_e32 v[8:9], v[25:26], v[251:252]
	v_mul_f64_e32 v[213:214], v[23:24], v[251:252]
	s_delay_alu instid0(VALU_DEP_2) | instskip(NEXT) | instid1(VALU_DEP_2)
	v_fma_f64 v[23:24], v[23:24], v[249:250], -v[8:9]
	v_fma_f64 v[25:26], v[25:26], v[249:250], v[213:214]
	v_dual_mov_b32 v252, v35 :: v_dual_mov_b32 v251, v34
	v_dual_mov_b32 v250, v33 :: v_dual_mov_b32 v249, v32
	ds_store_b128 v14, v[15:18] offset:13440
	ds_store_b128 v14, v[19:22] offset:14560
	;; [unrolled: 1-line block ×5, first 2 shown]
.LBB0_13:
	s_wait_alu 0xfffe
	s_or_b32 exec_lo, exec_lo, s1
	global_wb scope:SCOPE_SE
	s_wait_dscnt 0x0
	s_barrier_signal -1
	s_barrier_wait -1
	global_inv scope:SCOPE_SE
	s_and_saveexec_b32 s1, vcc_lo
	s_cbranch_execz .LBB0_15
; %bb.14:
	ds_load_b128 v[140:143], v14
	ds_load_b128 v[188:191], v14 offset:1120
	ds_load_b128 v[192:195], v14 offset:2240
	;; [unrolled: 1-line block ×16, first 2 shown]
.LBB0_15:
	s_wait_alu 0xfffe
	s_or_b32 exec_lo, exec_lo, s1
	s_wait_dscnt 0x0
	v_add_f64_e64 v[8:9], v[190:191], -v[247:248]
	s_mov_b32 s16, 0x7c9e640b
	s_mov_b32 s17, 0xbfeca52d
	v_add_f64_e32 v[253:254], v[188:189], v[245:246]
	v_add_f64_e64 v[39:40], v[194:195], -v[251:252]
	s_mov_b32 s2, 0x2b2883cd
	s_mov_b32 s18, 0x6c9a05f6
	;; [unrolled: 1-line block ×4, first 2 shown]
	v_add_f64_e32 v[196:197], v[192:193], v[249:250]
	v_add_f64_e32 v[10:11], v[190:191], v[247:248]
	s_mov_b32 s10, 0x6ed5f1bb
	s_mov_b32 s11, 0xbfe348c8
	v_add_f64_e64 v[12:13], v[188:189], -v[245:246]
	v_add_f64_e32 v[198:199], v[194:195], v[251:252]
	v_add_f64_e64 v[63:64], v[192:193], -v[249:250]
	v_add_f64_e64 v[61:62], v[186:187], -v[134:135]
	s_mov_b32 s25, 0x3fc7851a
	s_mov_b32 s24, 0xacd6c6b4
	v_add_f64_e32 v[200:201], v[184:185], v[132:133]
	v_add_f64_e32 v[202:203], v[186:187], v[134:135]
	s_mov_b32 s14, 0x7faef3
	s_mov_b32 s15, 0xbfef7484
	v_add_f64_e64 v[67:68], v[184:185], -v[132:133]
	v_add_f64_e64 v[65:66], v[182:183], -v[146:147]
	s_mov_b32 s34, 0x923c349f
	s_mov_b32 s35, 0x3feec746
	v_add_f64_e32 v[205:206], v[180:181], v[144:145]
	v_add_f64_e32 v[207:208], v[182:183], v[146:147]
	s_mov_b32 s20, 0xc61f0d01
	s_mov_b32 s21, 0xbfd183b1
	v_add_f64_e64 v[27:28], v[180:181], -v[144:145]
	v_add_f64_e64 v[43:44], v[178:179], -v[150:151]
	s_mov_b32 s36, 0x2a9d6da3
	s_mov_b32 s37, 0x3fe58eea
	v_add_f64_e32 v[209:210], v[176:177], v[148:149]
	v_add_f64_e32 v[213:214], v[178:179], v[150:151]
	s_mov_b32 s22, 0x75d4884
	s_wait_alu 0xfffe
	v_mul_f64_e32 v[15:16], s[16:17], v[8:9]
	s_mov_b32 s23, 0x3fe7a5f6
	v_add_f64_e64 v[33:34], v[176:177], -v[148:149]
	v_add_f64_e64 v[29:30], v[174:175], -v[154:155]
	v_mul_f64_e32 v[45:46], s[18:19], v[39:40]
	s_mov_b32 s38, 0x5d8e7cdc
	s_mov_b32 s39, 0xbfd71e95
	v_add_f64_e32 v[215:216], v[172:173], v[152:153]
	v_add_f64_e32 v[221:222], v[174:175], v[154:155]
	s_mov_b32 s26, 0x370991
	v_mul_f64_e32 v[6:7], s[2:3], v[10:11]
	s_mov_b32 s27, 0x3fedd6d0
	v_add_f64_e64 v[35:36], v[172:173], -v[152:153]
	v_add_f64_e64 v[31:32], v[162:163], -v[158:159]
	v_mul_f64_e32 v[47:48], s[10:11], v[198:199]
	s_mov_b32 s42, 0xeb564b22
	v_mul_f64_e32 v[49:50], s[24:25], v[61:62]
	s_mov_b32 s43, 0xbfefdd0d
	v_add_f64_e32 v[223:224], v[160:161], v[156:157]
	v_add_f64_e32 v[225:226], v[162:163], v[158:159]
	v_mul_f64_e32 v[51:52], s[14:15], v[202:203]
	s_mov_b32 s28, 0x3259b75e
	s_mov_b32 s29, 0x3fb79ee6
	v_add_f64_e64 v[37:38], v[160:161], -v[156:157]
	v_mul_f64_e32 v[53:54], s[34:35], v[65:66]
	v_add_f64_e64 v[90:91], v[170:171], -v[166:167]
	s_mov_b32 s40, 0x4363dd80
	s_mov_b32 s41, 0xbfe0d888
	v_mul_f64_e32 v[55:56], s[20:21], v[207:208]
	v_add_f64_e32 v[227:228], v[168:169], v[164:165]
	v_add_f64_e32 v[229:230], v[170:171], v[166:167]
	v_add_f64_e64 v[41:42], v[168:169], -v[164:165]
	v_mul_f64_e32 v[57:58], s[36:37], v[43:44]
	global_wb scope:SCOPE_SE
	s_barrier_signal -1
	s_barrier_wait -1
	s_wait_alu 0xfffe
	v_mul_f64_e32 v[69:70], s[22:23], v[213:214]
	global_inv scope:SCOPE_SE
	v_fma_f64 v[0:1], v[253:254], s[2:3], -v[15:16]
	v_mul_f64_e32 v[59:60], s[38:39], v[29:30]
	v_fma_f64 v[2:3], v[196:197], s[10:11], -v[45:46]
	v_mul_f64_e32 v[88:89], s[26:27], v[221:222]
	v_mul_f64_e32 v[86:87], s[42:43], v[31:32]
	v_fma_f64 v[4:5], v[63:64], s[18:19], v[47:48]
	v_mul_f64_e32 v[237:238], s[28:29], v[225:226]
	v_mul_f64_e32 v[233:234], s[40:41], v[90:91]
	v_add_f64_e32 v[0:1], v[140:141], v[0:1]
	s_delay_alu instid0(VALU_DEP_1) | instskip(SKIP_1) | instid1(VALU_DEP_1)
	v_add_f64_e32 v[0:1], v[2:3], v[0:1]
	v_fma_f64 v[2:3], v[12:13], s[16:17], v[6:7]
	v_add_f64_e32 v[2:3], v[142:143], v[2:3]
	s_delay_alu instid0(VALU_DEP_1) | instskip(SKIP_1) | instid1(VALU_DEP_1)
	v_add_f64_e32 v[2:3], v[4:5], v[2:3]
	v_fma_f64 v[4:5], v[200:201], s[14:15], -v[49:50]
	v_add_f64_e32 v[0:1], v[4:5], v[0:1]
	v_fma_f64 v[4:5], v[67:68], s[24:25], v[51:52]
	s_delay_alu instid0(VALU_DEP_1) | instskip(SKIP_1) | instid1(VALU_DEP_1)
	v_add_f64_e32 v[2:3], v[4:5], v[2:3]
	v_fma_f64 v[4:5], v[205:206], s[20:21], -v[53:54]
	v_add_f64_e32 v[0:1], v[4:5], v[0:1]
	v_fma_f64 v[4:5], v[27:28], s[34:35], v[55:56]
	;; [unrolled: 5-line block ×5, first 2 shown]
	s_delay_alu instid0(VALU_DEP_1) | instskip(SKIP_1) | instid1(VALU_DEP_1)
	v_add_f64_e32 v[2:3], v[4:5], v[2:3]
	v_fma_f64 v[4:5], v[227:228], s[30:31], -v[233:234]
	v_add_f64_e32 v[136:137], v[4:5], v[0:1]
	v_mul_f64_e32 v[4:5], s[30:31], v[229:230]
	s_delay_alu instid0(VALU_DEP_1) | instskip(NEXT) | instid1(VALU_DEP_1)
	v_fma_f64 v[0:1], v[41:42], s[40:41], v[4:5]
	v_add_f64_e32 v[138:139], v[0:1], v[2:3]
	s_and_saveexec_b32 s1, vcc_lo
	s_cbranch_execz .LBB0_17
; %bb.16:
	v_add_f64_e32 v[0:1], v[142:143], v[190:191]
	v_add_f64_e32 v[2:3], v[140:141], v[188:189]
	v_mul_f64_e32 v[21:22], s[42:43], v[12:13]
	v_mul_f64_e32 v[23:24], s[38:39], v[12:13]
	;; [unrolled: 1-line block ×3, first 2 shown]
	s_mov_b32 s25, 0xbfc7851a
	s_mov_b32 s45, 0xbfeec746
	;; [unrolled: 1-line block ×3, first 2 shown]
	v_mul_f64_e32 v[17:18], s[18:19], v[12:13]
	s_wait_alu 0xfffe
	v_mul_f64_e32 v[25:26], s[24:25], v[12:13]
	s_mov_b32 s49, 0xbfe58eea
	s_mov_b32 s48, s36
	;; [unrolled: 1-line block ×5, first 2 shown]
	v_mul_f64_e32 v[211:212], s[44:45], v[41:42]
	v_mul_f64_e32 v[217:218], s[44:45], v[90:91]
	;; [unrolled: 1-line block ×6, first 2 shown]
	s_mov_b32 s50, s38
	v_mov_b32_e32 v85, v82
	v_dual_mov_b32 v84, v81 :: v_dual_mov_b32 v83, v80
	v_dual_mov_b32 v82, v79 :: v_dual_mov_b32 v81, v78
	;; [unrolled: 1-line block ×4, first 2 shown]
	v_add_f64_e32 v[0:1], v[0:1], v[194:195]
	v_add_f64_e32 v[2:3], v[2:3], v[192:193]
	v_add_f64_e64 v[19:20], v[51:52], -v[19:20]
	v_mul_f64_e32 v[51:52], s[34:35], v[29:30]
	s_delay_alu instid0(VALU_DEP_4) | instskip(NEXT) | instid1(VALU_DEP_4)
	v_add_f64_e32 v[0:1], v[0:1], v[186:187]
	v_add_f64_e32 v[2:3], v[2:3], v[184:185]
	v_dual_mov_b32 v187, v5 :: v_dual_mov_b32 v186, v4
	s_delay_alu instid0(VALU_DEP_3) | instskip(NEXT) | instid1(VALU_DEP_3)
	v_add_f64_e32 v[0:1], v[0:1], v[182:183]
	v_add_f64_e32 v[2:3], v[2:3], v[180:181]
	s_delay_alu instid0(VALU_DEP_2) | instskip(NEXT) | instid1(VALU_DEP_2)
	v_add_f64_e32 v[0:1], v[0:1], v[178:179]
	v_add_f64_e32 v[2:3], v[2:3], v[176:177]
	s_delay_alu instid0(VALU_DEP_2) | instskip(NEXT) | instid1(VALU_DEP_2)
	v_add_f64_e32 v[0:1], v[0:1], v[174:175]
	v_add_f64_e32 v[2:3], v[2:3], v[172:173]
	s_delay_alu instid0(VALU_DEP_2) | instskip(NEXT) | instid1(VALU_DEP_2)
	v_add_f64_e32 v[0:1], v[0:1], v[162:163]
	v_add_f64_e32 v[2:3], v[2:3], v[160:161]
	v_mul_f64_e32 v[160:161], s[38:39], v[8:9]
	v_mul_f64_e32 v[162:163], s[24:25], v[8:9]
	s_delay_alu instid0(VALU_DEP_4) | instskip(NEXT) | instid1(VALU_DEP_4)
	v_add_f64_e32 v[0:1], v[0:1], v[170:171]
	v_add_f64_e32 v[2:3], v[2:3], v[168:169]
	s_delay_alu instid0(VALU_DEP_4)
	v_fma_f64 v[172:173], v[253:254], s[26:27], -v[160:161]
	v_fma_f64 v[160:161], v[253:254], s[26:27], v[160:161]
	v_fma_f64 v[174:175], v[253:254], s[14:15], -v[162:163]
	v_fma_f64 v[162:163], v[253:254], s[14:15], v[162:163]
	v_add_f64_e32 v[0:1], v[0:1], v[166:167]
	v_add_f64_e32 v[2:3], v[2:3], v[164:165]
	v_mul_f64_e32 v[164:165], s[44:45], v[8:9]
	s_delay_alu instid0(VALU_DEP_4) | instskip(NEXT) | instid1(VALU_DEP_4)
	v_add_f64_e32 v[162:163], v[140:141], v[162:163]
	v_add_f64_e32 v[0:1], v[0:1], v[158:159]
	s_delay_alu instid0(VALU_DEP_4)
	v_add_f64_e32 v[2:3], v[2:3], v[156:157]
	v_mul_f64_e32 v[158:159], s[42:43], v[8:9]
	v_fma_f64 v[176:177], v[253:254], s[20:21], -v[164:165]
	v_mul_f64_e32 v[156:157], s[18:19], v[8:9]
	v_fma_f64 v[164:165], v[253:254], s[20:21], v[164:165]
	v_add_f64_e32 v[0:1], v[0:1], v[154:155]
	v_add_f64_e32 v[2:3], v[2:3], v[152:153]
	v_fma_f64 v[170:171], v[253:254], s[28:29], -v[158:159]
	v_fma_f64 v[158:159], v[253:254], s[28:29], v[158:159]
	v_fma_f64 v[168:169], v[253:254], s[10:11], -v[156:157]
	v_fma_f64 v[156:157], v[253:254], s[10:11], v[156:157]
	v_add_f64_e32 v[164:165], v[140:141], v[164:165]
	v_add_f64_e32 v[0:1], v[0:1], v[150:151]
	;; [unrolled: 1-line block ×3, first 2 shown]
	v_fma_f64 v[148:149], v[10:11], s[26:27], v[23:24]
	v_fma_f64 v[23:24], v[10:11], s[26:27], -v[23:24]
	v_fma_f64 v[150:151], v[10:11], s[14:15], v[25:26]
	v_fma_f64 v[25:26], v[10:11], s[14:15], -v[25:26]
	v_add_f64_e32 v[168:169], v[140:141], v[168:169]
	v_add_f64_e32 v[156:157], v[140:141], v[156:157]
	;; [unrolled: 1-line block ×5, first 2 shown]
	v_fma_f64 v[146:147], v[10:11], s[28:29], v[21:22]
	v_fma_f64 v[144:145], v[10:11], s[10:11], v[17:18]
	v_fma_f64 v[17:18], v[10:11], s[10:11], -v[17:18]
	v_fma_f64 v[21:22], v[10:11], s[28:29], -v[21:22]
	v_add_f64_e32 v[0:1], v[0:1], v[134:135]
	v_add_f64_e32 v[2:3], v[2:3], v[132:133]
	v_mul_f64_e32 v[132:133], s[44:45], v[12:13]
	v_add_f64_e32 v[144:145], v[142:143], v[144:145]
	v_add_f64_e32 v[184:185], v[142:143], v[17:18]
	v_add_f64_e32 v[17:18], v[142:143], v[23:24]
	v_add_f64_e32 v[23:24], v[140:141], v[160:161]
	v_add_f64_e32 v[160:161], v[142:143], v[25:26]
	s_wait_alu 0xfffe
	v_mul_f64_e32 v[25:26], s[46:47], v[63:64]
	v_add_f64_e32 v[0:1], v[0:1], v[251:252]
	v_add_f64_e32 v[4:5], v[2:3], v[249:250]
	v_fma_f64 v[152:153], v[10:11], s[20:21], v[132:133]
	v_fma_f64 v[132:133], v[10:11], s[20:21], -v[132:133]
	v_mul_f64_e32 v[249:250], s[16:17], v[43:44]
	v_mul_f64_e32 v[251:252], s[40:41], v[35:36]
	v_add_f64_e32 v[2:3], v[0:1], v[247:248]
	v_add_f64_e32 v[0:1], v[4:5], v[245:246]
	v_mul_f64_e32 v[4:5], s[16:17], v[12:13]
	v_mul_f64_e32 v[247:248], s[40:41], v[31:32]
	v_mul_f64_e32 v[245:246], s[16:17], v[33:34]
	scratch_store_b128 off, v[0:3], off offset:332 ; 16-byte Folded Spill
	v_add_f64_e32 v[0:1], v[142:143], v[146:147]
	v_add_f64_e64 v[4:5], v[6:7], -v[4:5]
	v_mul_f64_e32 v[6:7], s[2:3], v[253:254]
	v_add_f64_e32 v[146:147], v[142:143], v[21:22]
	scratch_store_b64 off, v[0:1], off offset:388 ; 8-byte Folded Spill
	v_add_f64_e32 v[0:1], v[140:141], v[170:171]
	v_add_f64_e32 v[6:7], v[6:7], v[15:16]
	v_mul_f64_e32 v[15:16], s[40:41], v[12:13]
	v_mul_f64_e32 v[12:13], s[48:49], v[12:13]
	v_add_f64_e32 v[21:22], v[142:143], v[4:5]
	v_fma_f64 v[4:5], v[198:199], s[2:3], v[25:26]
	v_dual_mov_b32 v171, v40 :: v_dual_mov_b32 v170, v39
	scratch_store_b64 off, v[0:1], off offset:380 ; 8-byte Folded Spill
	v_add_f64_e32 v[0:1], v[142:143], v[148:149]
	v_fma_f64 v[134:135], v[10:11], s[30:31], v[15:16]
	v_fma_f64 v[15:16], v[10:11], s[30:31], -v[15:16]
	v_fma_f64 v[154:155], v[10:11], s[22:23], v[12:13]
	v_fma_f64 v[12:13], v[10:11], s[22:23], -v[12:13]
	v_mul_f64_e32 v[10:11], s[40:41], v[8:9]
	v_mul_f64_e32 v[8:9], s[48:49], v[8:9]
	v_add_f64_e32 v[188:189], v[140:141], v[6:7]
	v_add_f64_e32 v[148:149], v[142:143], v[150:151]
	;; [unrolled: 1-line block ×3, first 2 shown]
	scratch_store_b64 off, v[0:1], off offset:356 ; 8-byte Folded Spill
	v_add_f64_e32 v[0:1], v[140:141], v[172:173]
	v_add_f64_e32 v[134:135], v[142:143], v[134:135]
	;; [unrolled: 1-line block ×4, first 2 shown]
	v_fma_f64 v[166:167], v[253:254], s[30:31], -v[10:11]
	v_fma_f64 v[10:11], v[253:254], s[30:31], v[10:11]
	v_fma_f64 v[178:179], v[253:254], s[22:23], -v[8:9]
	v_fma_f64 v[180:181], v[253:254], s[22:23], v[8:9]
	v_dual_mov_b32 v173, v34 :: v_dual_mov_b32 v172, v33
	scratch_store_b64 off, v[0:1], off offset:348 ; 8-byte Folded Spill
	v_add_f64_e32 v[0:1], v[142:143], v[152:153]
	v_add_f64_e32 v[4:5], v[4:5], v[134:135]
	v_mul_f64_e32 v[134:135], s[42:43], v[67:68]
	v_add_f64_e32 v[166:167], v[140:141], v[166:167]
	v_add_f64_e32 v[182:183], v[140:141], v[10:11]
	;; [unrolled: 1-line block ×3, first 2 shown]
	scratch_store_b64 off, v[0:1], off offset:404 ; 8-byte Folded Spill
	v_add_f64_e32 v[0:1], v[140:141], v[176:177]
	v_add_f64_e32 v[176:177], v[142:143], v[132:133]
	v_mul_f64_e32 v[132:133], s[46:47], v[39:40]
	scratch_store_b64 off, v[0:1], off offset:396 ; 8-byte Folded Spill
	v_add_f64_e32 v[0:1], v[142:143], v[154:155]
	v_fma_f64 v[6:7], v[196:197], s[2:3], -v[132:133]
	scratch_store_b64 off, v[0:1], off offset:372 ; 8-byte Folded Spill
	v_add_f64_e32 v[0:1], v[140:141], v[178:179]
	v_fma_f64 v[140:141], v[202:203], s[28:29], v[134:135]
	v_add_f64_e32 v[6:7], v[6:7], v[166:167]
	v_mul_f64_e32 v[178:179], s[38:39], v[35:36]
	scratch_store_b64 off, v[0:1], off offset:364 ; 8-byte Folded Spill
	v_add_f64_e32 v[4:5], v[140:141], v[4:5]
	v_mul_f64_e32 v[140:141], s[42:43], v[61:62]
	v_mul_f64_e32 v[0:1], s[48:49], v[63:64]
	v_add_f64_e64 v[178:179], v[88:89], -v[178:179]
	v_mul_f64_e32 v[88:89], s[36:37], v[90:91]
	s_delay_alu instid0(VALU_DEP_4) | instskip(SKIP_3) | instid1(VALU_DEP_1)
	v_fma_f64 v[142:143], v[200:201], s[28:29], -v[140:141]
	scratch_store_b64 off, v[0:1], off offset:412 ; 8-byte Folded Spill
	v_add_f64_e32 v[6:7], v[142:143], v[6:7]
	v_mul_f64_e32 v[142:143], s[52:53], v[27:28]
	v_fma_f64 v[152:153], v[207:208], s[10:11], v[142:143]
	s_delay_alu instid0(VALU_DEP_1) | instskip(SKIP_1) | instid1(VALU_DEP_1)
	v_add_f64_e32 v[4:5], v[152:153], v[4:5]
	v_mul_f64_e32 v[152:153], s[52:53], v[65:66]
	v_fma_f64 v[154:155], v[205:206], s[10:11], -v[152:153]
	s_delay_alu instid0(VALU_DEP_1) | instskip(SKIP_1) | instid1(VALU_DEP_1)
	v_add_f64_e32 v[6:7], v[154:155], v[6:7]
	v_mul_f64_e32 v[154:155], s[38:39], v[33:34]
	v_fma_f64 v[166:167], v[213:214], s[26:27], v[154:155]
	s_delay_alu instid0(VALU_DEP_1) | instskip(SKIP_1) | instid1(VALU_DEP_1)
	v_add_f64_e32 v[4:5], v[166:167], v[4:5]
	v_mul_f64_e32 v[166:167], s[38:39], v[43:44]
	v_fma_f64 v[192:193], v[209:210], s[26:27], -v[166:167]
	s_delay_alu instid0(VALU_DEP_1) | instskip(SKIP_1) | instid1(VALU_DEP_1)
	;; [unrolled: 8-line block ×3, first 2 shown]
	v_add_f64_e32 v[6:7], v[253:254], v[6:7]
	v_mul_f64_e32 v[253:254], s[36:37], v[37:38]
	v_fma_f64 v[8:9], v[225:226], s[22:23], v[253:254]
	s_delay_alu instid0(VALU_DEP_1) | instskip(SKIP_1) | instid1(VALU_DEP_1)
	v_add_f64_e32 v[4:5], v[8:9], v[4:5]
	v_mul_f64_e32 v[8:9], s[36:37], v[31:32]
	v_fma_f64 v[10:11], v[223:224], s[22:23], -v[8:9]
	v_fma_f64 v[8:9], v[223:224], s[22:23], v[8:9]
	s_delay_alu instid0(VALU_DEP_2) | instskip(SKIP_1) | instid1(VALU_DEP_1)
	v_add_f64_e32 v[10:11], v[10:11], v[6:7]
	v_fma_f64 v[6:7], v[229:230], s[20:21], v[211:212]
	v_add_f64_e32 v[6:7], v[6:7], v[4:5]
	v_fma_f64 v[4:5], v[227:228], s[20:21], -v[217:218]
	s_delay_alu instid0(VALU_DEP_1) | instskip(SKIP_2) | instid1(VALU_DEP_2)
	v_add_f64_e32 v[4:5], v[4:5], v[10:11]
	v_fma_f64 v[10:11], v[198:199], s[2:3], -v[25:26]
	v_fma_f64 v[25:26], v[202:203], s[28:29], -v[134:135]
	v_add_f64_e32 v[10:11], v[10:11], v[15:16]
	v_fma_f64 v[15:16], v[196:197], s[2:3], v[132:133]
	s_delay_alu instid0(VALU_DEP_2) | instskip(NEXT) | instid1(VALU_DEP_2)
	v_add_f64_e32 v[10:11], v[25:26], v[10:11]
	v_add_f64_e32 v[15:16], v[15:16], v[182:183]
	v_fma_f64 v[25:26], v[200:201], s[28:29], v[140:141]
	v_mul_f64_e32 v[182:183], s[40:41], v[37:38]
	v_mul_f64_e32 v[140:141], s[14:15], v[200:201]
	s_delay_alu instid0(VALU_DEP_3) | instskip(SKIP_1) | instid1(VALU_DEP_3)
	v_add_f64_e32 v[15:16], v[25:26], v[15:16]
	v_fma_f64 v[25:26], v[207:208], s[10:11], -v[142:143]
	v_add_f64_e32 v[140:141], v[140:141], v[49:50]
	v_mul_f64_e32 v[142:143], s[34:35], v[27:28]
	s_delay_alu instid0(VALU_DEP_3) | instskip(SKIP_2) | instid1(VALU_DEP_4)
	v_add_f64_e32 v[10:11], v[25:26], v[10:11]
	v_fma_f64 v[25:26], v[205:206], s[10:11], v[152:153]
	v_mul_f64_e32 v[152:153], s[20:21], v[205:206]
	v_add_f64_e64 v[142:143], v[55:56], -v[142:143]
	v_mul_f64_e32 v[55:56], s[46:47], v[31:32]
	s_delay_alu instid0(VALU_DEP_4) | instskip(SKIP_4) | instid1(VALU_DEP_4)
	v_add_f64_e32 v[15:16], v[25:26], v[15:16]
	v_fma_f64 v[25:26], v[213:214], s[26:27], -v[154:155]
	v_add_f64_e32 v[152:153], v[152:153], v[53:54]
	v_mul_f64_e32 v[154:155], s[36:37], v[33:34]
	v_fma_f64 v[53:54], v[215:216], s[20:21], v[51:52]
	v_add_f64_e32 v[10:11], v[25:26], v[10:11]
	v_fma_f64 v[25:26], v[209:210], s[26:27], v[166:167]
	v_mul_f64_e32 v[166:167], s[22:23], v[209:210]
	v_add_f64_e64 v[154:155], v[69:70], -v[154:155]
	v_dual_mov_b32 v70, v42 :: v_dual_mov_b32 v69, v41
	s_delay_alu instid0(VALU_DEP_4) | instskip(SKIP_4) | instid1(VALU_DEP_4)
	v_add_f64_e32 v[15:16], v[25:26], v[15:16]
	v_fma_f64 v[25:26], v[221:222], s[14:15], -v[192:193]
	v_mul_f64_e32 v[192:193], s[16:17], v[67:68]
	v_add_f64_e32 v[166:167], v[166:167], v[57:58]
	v_fma_f64 v[57:58], v[223:224], s[2:3], v[55:56]
	v_add_f64_e32 v[10:11], v[25:26], v[10:11]
	v_fma_f64 v[25:26], v[215:216], s[14:15], v[194:195]
	v_mul_f64_e32 v[194:195], s[16:17], v[61:62]
	s_delay_alu instid0(VALU_DEP_2) | instskip(SKIP_3) | instid1(VALU_DEP_4)
	v_add_f64_e32 v[15:16], v[25:26], v[15:16]
	v_fma_f64 v[25:26], v[225:226], s[22:23], -v[253:254]
	v_mul_f64_e32 v[253:254], s[44:45], v[33:34]
	v_mul_f64_e32 v[33:34], s[36:37], v[41:42]
	v_add_f64_e32 v[8:9], v[8:9], v[15:16]
	s_delay_alu instid0(VALU_DEP_4) | instskip(SKIP_4) | instid1(VALU_DEP_4)
	v_add_f64_e32 v[10:11], v[25:26], v[10:11]
	v_fma_f64 v[15:16], v[229:230], s[20:21], -v[211:212]
	v_mul_f64_e32 v[211:212], s[42:43], v[27:28]
	v_fma_f64 v[25:26], v[227:228], s[20:21], v[217:218]
	v_mul_f64_e32 v[217:218], s[42:43], v[65:66]
	v_add_f64_e32 v[134:135], v[15:16], v[10:11]
	v_fma_f64 v[10:11], v[198:199], s[22:23], -v[0:1]
	v_mul_f64_e32 v[0:1], s[48:49], v[39:40]
	v_add_f64_e32 v[132:133], v[25:26], v[8:9]
	v_mul_f64_e32 v[25:26], s[10:11], v[196:197]
	v_mov_b32_e32 v8, v27
	v_dual_mov_b32 v76, v73 :: v_dual_mov_b32 v75, v72
	v_dual_mov_b32 v74, v71 :: v_dual_mov_b32 v71, v242
	v_mul_f64_e32 v[241:242], s[50:51], v[65:66]
	v_mov_b32_e32 v9, v28
	v_mul_f64_e32 v[72:73], s[52:53], v[37:38]
	v_dual_mov_b32 v175, v44 :: v_dual_mov_b32 v174, v43
	v_add_f64_e32 v[10:11], v[10:11], v[17:18]
	v_fma_f64 v[15:16], v[196:197], s[22:23], v[0:1]
	v_fma_f64 v[17:18], v[202:203], s[2:3], -v[192:193]
	v_add_f64_e32 v[25:26], v[25:26], v[45:46]
	scratch_store_b64 off, v[0:1], off offset:420 ; 8-byte Folded Spill
	v_mul_f64_e32 v[0:1], s[34:35], v[61:62]
	v_add_f64_e32 v[15:16], v[15:16], v[23:24]
	v_add_f64_e32 v[10:11], v[17:18], v[10:11]
	v_fma_f64 v[17:18], v[200:201], s[2:3], v[194:195]
	s_delay_alu instid0(VALU_DEP_4) | instskip(SKIP_1) | instid1(VALU_DEP_3)
	v_fma_f64 v[2:3], v[200:201], s[20:21], v[0:1]
	v_fma_f64 v[0:1], v[200:201], s[20:21], -v[0:1]
	v_add_f64_e32 v[15:16], v[17:18], v[15:16]
	v_fma_f64 v[17:18], v[207:208], s[28:29], -v[211:212]
	s_delay_alu instid0(VALU_DEP_1) | instskip(SKIP_1) | instid1(VALU_DEP_1)
	v_add_f64_e32 v[10:11], v[17:18], v[10:11]
	v_fma_f64 v[17:18], v[205:206], s[28:29], v[217:218]
	v_add_f64_e32 v[15:16], v[17:18], v[15:16]
	v_fma_f64 v[17:18], v[213:214], s[20:21], -v[253:254]
	s_delay_alu instid0(VALU_DEP_1) | instskip(SKIP_1) | instid1(VALU_DEP_1)
	v_add_f64_e32 v[10:11], v[17:18], v[10:11]
	v_fma_f64 v[17:18], v[209:210], s[20:21], v[231:232]
	;; [unrolled: 5-line block ×4, first 2 shown]
	v_add_f64_e32 v[15:16], v[17:18], v[15:16]
	v_fma_f64 v[17:18], v[229:230], s[14:15], -v[219:220]
	s_delay_alu instid0(VALU_DEP_1) | instskip(SKIP_1) | instid1(VALU_DEP_1)
	v_add_f64_e32 v[17:18], v[17:18], v[10:11]
	v_mul_f64_e32 v[10:11], s[24:25], v[90:91]
	v_fma_f64 v[23:24], v[227:228], s[14:15], v[10:11]
	s_delay_alu instid0(VALU_DEP_1) | instskip(SKIP_1) | instid1(VALU_DEP_1)
	v_add_f64_e32 v[15:16], v[23:24], v[15:16]
	v_mul_f64_e32 v[23:24], s[18:19], v[63:64]
	v_add_f64_e64 v[23:24], v[47:48], -v[23:24]
	v_mul_f64_e32 v[47:48], s[46:47], v[69:70]
	s_delay_alu instid0(VALU_DEP_2)
	v_add_f64_e32 v[21:22], v[23:24], v[21:22]
	v_add_f64_e32 v[23:24], v[25:26], v[188:189]
	v_mul_f64_e32 v[25:26], s[26:27], v[215:216]
	v_mul_f64_e32 v[188:189], s[24:25], v[39:40]
	v_fma_f64 v[49:50], v[229:230], s[2:3], -v[47:48]
	v_add_f64_e32 v[19:20], v[19:20], v[21:22]
	v_add_f64_e32 v[21:22], v[140:141], v[23:24]
	;; [unrolled: 1-line block ×3, first 2 shown]
	v_mul_f64_e32 v[23:24], s[42:43], v[37:38]
	v_mul_f64_e32 v[140:141], s[28:29], v[223:224]
	v_dual_mov_b32 v60, v38 :: v_dual_mov_b32 v59, v37
	v_add_f64_e32 v[19:20], v[142:143], v[19:20]
	v_add_f64_e32 v[21:22], v[152:153], v[21:22]
	v_mul_f64_e32 v[142:143], s[40:41], v[41:42]
	v_add_f64_e64 v[23:24], v[237:238], -v[23:24]
	v_add_f64_e32 v[140:141], v[140:141], v[86:87]
	v_mul_f64_e32 v[237:238], s[50:51], v[27:28]
	v_mul_f64_e32 v[27:28], s[40:41], v[29:30]
	v_mul_f64_e32 v[86:87], s[52:53], v[31:32]
	v_mul_f64_e32 v[152:153], s[38:39], v[67:68]
	s_mov_b32 s53, 0x3fefdd0d
	s_mov_b32 s52, s42
	v_add_f64_e32 v[19:20], v[154:155], v[19:20]
	v_add_f64_e32 v[21:22], v[166:167], v[21:22]
	v_add_f64_e64 v[142:143], v[186:187], -v[142:143]
	v_mul_f64_e32 v[154:155], s[38:39], v[61:62]
	s_wait_alu 0xfffe
	v_mul_f64_e32 v[166:167], s[52:53], v[172:173]
	v_add_f64_e32 v[19:20], v[178:179], v[19:20]
	v_add_f64_e32 v[21:22], v[25:26], v[21:22]
	v_mul_f64_e32 v[25:26], s[30:31], v[227:228]
	v_mul_f64_e32 v[178:179], s[24:25], v[63:64]
	s_delay_alu instid0(VALU_DEP_4) | instskip(NEXT) | instid1(VALU_DEP_4)
	v_add_f64_e32 v[19:20], v[23:24], v[19:20]
	v_add_f64_e32 v[23:24], v[140:141], v[21:22]
	s_delay_alu instid0(VALU_DEP_4) | instskip(SKIP_1) | instid1(VALU_DEP_4)
	v_add_f64_e32 v[25:26], v[25:26], v[233:234]
	v_mul_f64_e32 v[233:234], s[34:35], v[67:68]
	v_add_f64_e32 v[21:22], v[142:143], v[19:20]
	v_fma_f64 v[142:143], v[202:203], s[26:27], -v[152:153]
	s_delay_alu instid0(VALU_DEP_4) | instskip(SKIP_3) | instid1(VALU_DEP_3)
	v_add_f64_e32 v[19:20], v[25:26], v[23:24]
	v_fma_f64 v[23:24], v[198:199], s[14:15], -v[178:179]
	v_fma_f64 v[25:26], v[196:197], s[14:15], v[188:189]
	v_fma_f64 v[140:141], v[202:203], s[20:21], -v[233:234]
	v_add_f64_e32 v[23:24], v[23:24], v[146:147]
	s_delay_alu instid0(VALU_DEP_3)
	v_add_f64_e32 v[25:26], v[25:26], v[158:159]
	v_mul_f64_e32 v[146:147], s[34:35], v[39:40]
	v_mul_f64_e32 v[158:159], s[40:41], v[65:66]
	;; [unrolled: 1-line block ×3, first 2 shown]
	v_add_f64_e32 v[23:24], v[140:141], v[23:24]
	v_add_f64_e32 v[2:3], v[2:3], v[25:26]
	v_fma_f64 v[25:26], v[207:208], s[26:27], -v[237:238]
	v_fma_f64 v[140:141], v[196:197], s[20:21], v[146:147]
	v_fma_f64 v[41:42], v[221:222], s[22:23], -v[39:40]
	v_fma_f64 v[39:40], v[221:222], s[22:23], v[39:40]
	s_delay_alu instid0(VALU_DEP_4) | instskip(SKIP_3) | instid1(VALU_DEP_3)
	v_add_f64_e32 v[23:24], v[25:26], v[23:24]
	v_fma_f64 v[25:26], v[205:206], s[26:27], v[241:242]
	v_add_f64_e32 v[140:141], v[140:141], v[156:157]
	v_mul_f64_e32 v[156:157], s[40:41], v[8:9]
	v_add_f64_e32 v[2:3], v[25:26], v[2:3]
	v_fma_f64 v[25:26], v[213:214], s[2:3], -v[245:246]
	s_delay_alu instid0(VALU_DEP_1) | instskip(SKIP_1) | instid1(VALU_DEP_1)
	v_add_f64_e32 v[23:24], v[25:26], v[23:24]
	v_fma_f64 v[25:26], v[209:210], s[2:3], v[249:250]
	v_add_f64_e32 v[2:3], v[25:26], v[2:3]
	v_fma_f64 v[25:26], v[221:222], s[30:31], -v[251:252]
	s_delay_alu instid0(VALU_DEP_1) | instskip(SKIP_2) | instid1(VALU_DEP_2)
	v_add_f64_e32 v[23:24], v[25:26], v[23:24]
	v_fma_f64 v[25:26], v[215:216], s[30:31], v[27:28]
	v_fma_f64 v[27:28], v[215:216], s[30:31], -v[27:28]
	v_add_f64_e32 v[2:3], v[25:26], v[2:3]
	v_fma_f64 v[25:26], v[225:226], s[10:11], -v[72:73]
	s_delay_alu instid0(VALU_DEP_1) | instskip(SKIP_1) | instid1(VALU_DEP_1)
	v_add_f64_e32 v[23:24], v[25:26], v[23:24]
	v_fma_f64 v[25:26], v[223:224], s[10:11], v[86:87]
	v_add_f64_e32 v[2:3], v[25:26], v[2:3]
	v_fma_f64 v[25:26], v[229:230], s[22:23], -v[33:34]
	s_delay_alu instid0(VALU_DEP_1) | instskip(SKIP_1) | instid1(VALU_DEP_1)
	v_add_f64_e32 v[25:26], v[25:26], v[23:24]
	v_fma_f64 v[23:24], v[227:228], s[22:23], v[88:89]
	v_add_f64_e32 v[23:24], v[23:24], v[2:3]
	v_mul_f64_e32 v[2:3], s[34:35], v[63:64]
	s_delay_alu instid0(VALU_DEP_1) | instskip(SKIP_1) | instid1(VALU_DEP_2)
	v_fma_f64 v[37:38], v[198:199], s[20:21], -v[2:3]
	v_fma_f64 v[2:3], v[198:199], s[20:21], v[2:3]
	v_add_f64_e32 v[37:38], v[37:38], v[184:185]
	v_mul_f64_e32 v[184:185], s[52:53], v[43:44]
	v_mul_f64_e32 v[43:44], s[24:25], v[59:60]
	s_delay_alu instid0(VALU_DEP_4)
	v_add_f64_e32 v[2:3], v[2:3], v[144:145]
	v_fma_f64 v[144:145], v[202:203], s[26:27], v[152:153]
	v_mul_f64_e32 v[152:153], s[18:19], v[172:173]
	v_add_f64_e32 v[37:38], v[142:143], v[37:38]
	v_fma_f64 v[142:143], v[200:201], s[26:27], v[154:155]
	v_fma_f64 v[45:46], v[225:226], s[14:15], -v[43:44]
	v_add_f64_e32 v[2:3], v[144:145], v[2:3]
	v_fma_f64 v[144:145], v[200:201], s[26:27], -v[154:155]
	v_mul_f64_e32 v[154:155], s[18:19], v[174:175]
	v_add_f64_e32 v[140:141], v[142:143], v[140:141]
	v_fma_f64 v[142:143], v[207:208], s[30:31], -v[156:157]
	s_delay_alu instid0(VALU_DEP_1) | instskip(SKIP_1) | instid1(VALU_DEP_1)
	v_add_f64_e32 v[37:38], v[142:143], v[37:38]
	v_fma_f64 v[142:143], v[205:206], s[30:31], v[158:159]
	v_add_f64_e32 v[140:141], v[142:143], v[140:141]
	v_fma_f64 v[142:143], v[213:214], s[28:29], -v[166:167]
	s_delay_alu instid0(VALU_DEP_1) | instskip(SKIP_1) | instid1(VALU_DEP_2)
	v_add_f64_e32 v[37:38], v[142:143], v[37:38]
	v_fma_f64 v[142:143], v[209:210], s[28:29], v[184:185]
	v_add_f64_e32 v[37:38], v[41:42], v[37:38]
	v_mul_f64_e32 v[41:42], s[48:49], v[29:30]
	s_delay_alu instid0(VALU_DEP_3) | instskip(NEXT) | instid1(VALU_DEP_3)
	v_add_f64_e32 v[140:141], v[142:143], v[140:141]
	v_add_f64_e32 v[37:38], v[45:46], v[37:38]
	s_delay_alu instid0(VALU_DEP_3) | instskip(SKIP_1) | instid1(VALU_DEP_2)
	v_fma_f64 v[142:143], v[215:216], s[22:23], v[41:42]
	v_mul_f64_e32 v[45:46], s[24:25], v[31:32]
	v_add_f64_e32 v[140:141], v[142:143], v[140:141]
	s_delay_alu instid0(VALU_DEP_2) | instskip(NEXT) | instid1(VALU_DEP_1)
	v_fma_f64 v[142:143], v[223:224], s[14:15], v[45:46]
	v_add_f64_e32 v[140:141], v[142:143], v[140:141]
	v_add_f64_e32 v[142:143], v[49:50], v[37:38]
	v_mul_f64_e32 v[37:38], s[46:47], v[90:91]
	s_delay_alu instid0(VALU_DEP_1) | instskip(SKIP_1) | instid1(VALU_DEP_2)
	v_fma_f64 v[49:50], v[227:228], s[2:3], v[37:38]
	v_fma_f64 v[37:38], v[227:228], s[2:3], -v[37:38]
	v_add_f64_e32 v[140:141], v[49:50], v[140:141]
	v_fma_f64 v[49:50], v[196:197], s[20:21], -v[146:147]
	s_delay_alu instid0(VALU_DEP_1) | instskip(SKIP_1) | instid1(VALU_DEP_2)
	v_add_f64_e32 v[49:50], v[49:50], v[168:169]
	v_mul_f64_e32 v[168:169], s[44:45], v[31:32]
	v_add_f64_e32 v[49:50], v[144:145], v[49:50]
	v_fma_f64 v[144:145], v[207:208], s[30:31], v[156:157]
	v_mul_f64_e32 v[156:157], s[46:47], v[35:36]
	s_delay_alu instid0(VALU_DEP_2) | instskip(SKIP_2) | instid1(VALU_DEP_2)
	v_add_f64_e32 v[2:3], v[144:145], v[2:3]
	v_fma_f64 v[144:145], v[205:206], s[30:31], -v[158:159]
	v_mul_f64_e32 v[158:159], s[46:47], v[29:30]
	v_add_f64_e32 v[49:50], v[144:145], v[49:50]
	v_fma_f64 v[144:145], v[213:214], s[28:29], v[166:167]
	v_mul_f64_e32 v[166:167], s[44:45], v[59:60]
	s_delay_alu instid0(VALU_DEP_2) | instskip(SKIP_2) | instid1(VALU_DEP_3)
	v_add_f64_e32 v[2:3], v[144:145], v[2:3]
	v_fma_f64 v[144:145], v[209:210], s[28:29], -v[184:185]
	v_mul_f64_e32 v[184:185], s[52:53], v[69:70]
	v_add_f64_e32 v[2:3], v[39:40], v[2:3]
	s_delay_alu instid0(VALU_DEP_3) | instskip(SKIP_3) | instid1(VALU_DEP_3)
	v_add_f64_e32 v[49:50], v[144:145], v[49:50]
	v_fma_f64 v[39:40], v[215:216], s[22:23], -v[41:42]
	v_fma_f64 v[41:42], v[225:226], s[14:15], v[43:44]
	v_mul_f64_e32 v[43:44], s[40:41], v[67:68]
	v_add_f64_e32 v[39:40], v[39:40], v[49:50]
	s_delay_alu instid0(VALU_DEP_3) | instskip(SKIP_1) | instid1(VALU_DEP_4)
	v_add_f64_e32 v[2:3], v[41:42], v[2:3]
	v_fma_f64 v[41:42], v[223:224], s[14:15], -v[45:46]
	v_fma_f64 v[45:46], v[202:203], s[30:31], v[43:44]
	s_delay_alu instid0(VALU_DEP_2) | instskip(SKIP_1) | instid1(VALU_DEP_2)
	v_add_f64_e32 v[39:40], v[41:42], v[39:40]
	v_fma_f64 v[41:42], v[229:230], s[2:3], v[47:48]
	v_add_f64_e32 v[144:145], v[37:38], v[39:40]
	s_delay_alu instid0(VALU_DEP_2) | instskip(SKIP_2) | instid1(VALU_DEP_2)
	v_add_f64_e32 v[146:147], v[41:42], v[2:3]
	v_mul_f64_e32 v[2:3], s[50:51], v[63:64]
	v_mul_f64_e32 v[39:40], s[50:51], v[170:171]
	v_fma_f64 v[37:38], v[198:199], s[26:27], v[2:3]
	s_delay_alu instid0(VALU_DEP_2) | instskip(SKIP_2) | instid1(VALU_DEP_4)
	v_fma_f64 v[41:42], v[196:197], s[26:27], -v[39:40]
	v_fma_f64 v[2:3], v[198:199], s[26:27], -v[2:3]
	v_fma_f64 v[39:40], v[196:197], s[26:27], v[39:40]
	v_add_f64_e32 v[37:38], v[37:38], v[148:149]
	s_delay_alu instid0(VALU_DEP_4) | instskip(NEXT) | instid1(VALU_DEP_4)
	v_add_f64_e32 v[41:42], v[41:42], v[150:151]
	v_add_f64_e32 v[2:3], v[2:3], v[160:161]
	s_delay_alu instid0(VALU_DEP_4) | instskip(NEXT) | instid1(VALU_DEP_4)
	v_add_f64_e32 v[39:40], v[39:40], v[162:163]
	v_add_f64_e32 v[37:38], v[45:46], v[37:38]
	v_mul_f64_e32 v[45:46], s[40:41], v[61:62]
	s_mov_b32 s41, 0x3fe0d888
	s_delay_alu instid0(VALU_DEP_1) | instskip(NEXT) | instid1(VALU_DEP_1)
	v_fma_f64 v[47:48], v[200:201], s[30:31], -v[45:46]
	v_add_f64_e32 v[41:42], v[47:48], v[41:42]
	v_mul_f64_e32 v[47:48], s[36:37], v[8:9]
	s_delay_alu instid0(VALU_DEP_1) | instskip(NEXT) | instid1(VALU_DEP_1)
	v_fma_f64 v[49:50], v[207:208], s[22:23], v[47:48]
	v_add_f64_e32 v[37:38], v[49:50], v[37:38]
	v_mul_f64_e32 v[49:50], s[36:37], v[65:66]
	s_delay_alu instid0(VALU_DEP_1) | instskip(NEXT) | instid1(VALU_DEP_1)
	v_fma_f64 v[148:149], v[205:206], s[22:23], -v[49:50]
	v_add_f64_e32 v[41:42], v[148:149], v[41:42]
	v_fma_f64 v[148:149], v[213:214], s[10:11], v[152:153]
	s_delay_alu instid0(VALU_DEP_1) | instskip(SKIP_1) | instid1(VALU_DEP_1)
	v_add_f64_e32 v[37:38], v[148:149], v[37:38]
	v_fma_f64 v[148:149], v[209:210], s[10:11], -v[154:155]
	v_add_f64_e32 v[41:42], v[148:149], v[41:42]
	v_fma_f64 v[148:149], v[221:222], s[2:3], v[156:157]
	s_delay_alu instid0(VALU_DEP_1) | instskip(SKIP_1) | instid1(VALU_DEP_1)
	v_add_f64_e32 v[37:38], v[148:149], v[37:38]
	;; [unrolled: 5-line block ×4, first 2 shown]
	v_mul_f64_e32 v[37:38], s[52:53], v[90:91]
	v_fma_f64 v[148:149], v[227:228], s[28:29], -v[37:38]
	v_fma_f64 v[37:38], v[227:228], s[28:29], v[37:38]
	s_delay_alu instid0(VALU_DEP_2) | instskip(SKIP_1) | instid1(VALU_DEP_1)
	v_add_f64_e32 v[148:149], v[148:149], v[41:42]
	v_fma_f64 v[41:42], v[202:203], s[30:31], -v[43:44]
	v_add_f64_e32 v[2:3], v[41:42], v[2:3]
	v_fma_f64 v[41:42], v[200:201], s[30:31], v[45:46]
	s_delay_alu instid0(VALU_DEP_1) | instskip(SKIP_1) | instid1(VALU_DEP_1)
	v_add_f64_e32 v[39:40], v[41:42], v[39:40]
	v_fma_f64 v[41:42], v[207:208], s[22:23], -v[47:48]
	v_add_f64_e32 v[2:3], v[41:42], v[2:3]
	v_fma_f64 v[41:42], v[205:206], s[22:23], v[49:50]
	s_delay_alu instid0(VALU_DEP_1) | instskip(SKIP_1) | instid1(VALU_DEP_1)
	;; [unrolled: 5-line block ×3, first 2 shown]
	v_add_f64_e32 v[39:40], v[41:42], v[39:40]
	v_fma_f64 v[41:42], v[221:222], s[2:3], -v[156:157]
	v_add_f64_e32 v[2:3], v[41:42], v[2:3]
	v_fma_f64 v[41:42], v[215:216], s[2:3], v[158:159]
	s_delay_alu instid0(VALU_DEP_1) | instskip(SKIP_3) | instid1(VALU_DEP_2)
	v_add_f64_e32 v[39:40], v[41:42], v[39:40]
	v_fma_f64 v[41:42], v[225:226], s[20:21], -v[166:167]
	s_wait_alu 0xfffe
	v_mul_f64_e32 v[166:167], s[40:41], v[170:171]
	v_add_f64_e32 v[2:3], v[41:42], v[2:3]
	v_fma_f64 v[41:42], v[223:224], s[20:21], v[168:169]
	s_delay_alu instid0(VALU_DEP_3) | instskip(NEXT) | instid1(VALU_DEP_2)
	v_fma_f64 v[162:163], v[196:197], s[30:31], v[166:167]
	v_add_f64_e32 v[39:40], v[41:42], v[39:40]
	v_fma_f64 v[41:42], v[229:230], s[28:29], -v[184:185]
	v_mul_f64_e32 v[184:185], s[34:35], v[35:36]
	s_delay_alu instid0(VALU_DEP_4)
	v_add_f64_e32 v[162:163], v[162:163], v[164:165]
	v_mul_f64_e32 v[164:165], s[36:37], v[67:68]
	v_add_f64_e32 v[152:153], v[37:38], v[39:40]
	v_add_f64_e32 v[154:155], v[41:42], v[2:3]
	v_mul_f64_e32 v[2:3], s[42:43], v[63:64]
	v_mul_f64_e32 v[41:42], s[18:19], v[67:68]
	v_fma_f64 v[168:169], v[202:203], s[22:23], -v[164:165]
	v_mul_f64_e32 v[67:68], s[18:19], v[90:91]
	s_delay_alu instid0(VALU_DEP_4) | instskip(NEXT) | instid1(VALU_DEP_4)
	v_fma_f64 v[37:38], v[198:199], s[28:29], -v[2:3]
	v_fma_f64 v[43:44], v[202:203], s[10:11], -v[41:42]
	s_delay_alu instid0(VALU_DEP_2) | instskip(SKIP_1) | instid1(VALU_DEP_2)
	v_add_f64_e32 v[12:13], v[37:38], v[12:13]
	v_mul_f64_e32 v[37:38], s[42:43], v[170:171]
	v_add_f64_e32 v[12:13], v[43:44], v[12:13]
	s_delay_alu instid0(VALU_DEP_2) | instskip(SKIP_1) | instid1(VALU_DEP_2)
	v_fma_f64 v[39:40], v[196:197], s[28:29], v[37:38]
	v_mul_f64_e32 v[43:44], s[18:19], v[61:62]
	v_add_f64_e32 v[39:40], v[39:40], v[180:181]
	s_delay_alu instid0(VALU_DEP_2) | instskip(SKIP_1) | instid1(VALU_DEP_2)
	v_fma_f64 v[45:46], v[200:201], s[10:11], v[43:44]
	v_mul_f64_e32 v[180:181], s[40:41], v[174:175]
	v_add_f64_e32 v[39:40], v[45:46], v[39:40]
	v_mul_f64_e32 v[45:46], s[24:25], v[8:9]
	s_delay_alu instid0(VALU_DEP_1) | instskip(NEXT) | instid1(VALU_DEP_1)
	v_fma_f64 v[47:48], v[207:208], s[14:15], -v[45:46]
	v_add_f64_e32 v[12:13], v[47:48], v[12:13]
	v_mul_f64_e32 v[47:48], s[24:25], v[65:66]
	s_delay_alu instid0(VALU_DEP_1) | instskip(NEXT) | instid1(VALU_DEP_1)
	v_fma_f64 v[49:50], v[205:206], s[14:15], v[47:48]
	v_add_f64_e32 v[39:40], v[49:50], v[39:40]
	v_mul_f64_e32 v[49:50], s[40:41], v[172:173]
	s_delay_alu instid0(VALU_DEP_1) | instskip(NEXT) | instid1(VALU_DEP_1)
	v_fma_f64 v[156:157], v[213:214], s[30:31], -v[49:50]
	v_add_f64_e32 v[12:13], v[156:157], v[12:13]
	v_fma_f64 v[156:157], v[209:210], s[30:31], v[180:181]
	s_delay_alu instid0(VALU_DEP_1) | instskip(SKIP_1) | instid1(VALU_DEP_2)
	v_add_f64_e32 v[39:40], v[156:157], v[39:40]
	v_fma_f64 v[156:157], v[221:222], s[20:21], -v[184:185]
	v_add_f64_e32 v[39:40], v[53:54], v[39:40]
	v_mul_f64_e32 v[53:54], s[46:47], v[59:60]
	s_delay_alu instid0(VALU_DEP_3) | instskip(SKIP_1) | instid1(VALU_DEP_4)
	v_add_f64_e32 v[12:13], v[156:157], v[12:13]
	v_mul_f64_e32 v[59:60], s[38:39], v[59:60]
	v_add_f64_e32 v[39:40], v[57:58], v[39:40]
	s_delay_alu instid0(VALU_DEP_4) | instskip(SKIP_1) | instid1(VALU_DEP_2)
	v_fma_f64 v[156:157], v[225:226], s[2:3], -v[53:54]
	v_mul_f64_e32 v[57:58], s[50:51], v[69:70]
	v_add_f64_e32 v[12:13], v[156:157], v[12:13]
	s_delay_alu instid0(VALU_DEP_2) | instskip(NEXT) | instid1(VALU_DEP_1)
	v_fma_f64 v[156:157], v[229:230], s[26:27], -v[57:58]
	v_add_f64_e32 v[158:159], v[156:157], v[12:13]
	v_mul_f64_e32 v[12:13], s[50:51], v[90:91]
	s_delay_alu instid0(VALU_DEP_1) | instskip(SKIP_1) | instid1(VALU_DEP_2)
	v_fma_f64 v[156:157], v[227:228], s[26:27], v[12:13]
	v_fma_f64 v[12:13], v[227:228], s[26:27], -v[12:13]
	v_add_f64_e32 v[156:157], v[156:157], v[39:40]
	v_mul_f64_e32 v[39:40], s[40:41], v[63:64]
	v_mul_f64_e32 v[63:64], s[38:39], v[31:32]
	s_delay_alu instid0(VALU_DEP_2) | instskip(NEXT) | instid1(VALU_DEP_1)
	v_fma_f64 v[160:161], v[198:199], s[30:31], -v[39:40]
	v_add_f64_e32 v[160:161], v[160:161], v[176:177]
	s_delay_alu instid0(VALU_DEP_1) | instskip(SKIP_3) | instid1(VALU_DEP_3)
	v_add_f64_e32 v[160:161], v[168:169], v[160:161]
	v_mul_f64_e32 v[168:169], s[36:37], v[61:62]
	v_fma_f64 v[61:62], v[225:226], s[26:27], -v[59:60]
	v_fma_f64 v[59:60], v[225:226], s[26:27], v[59:60]
	v_fma_f64 v[176:177], v[200:201], s[22:23], v[168:169]
	s_delay_alu instid0(VALU_DEP_1) | instskip(SKIP_1) | instid1(VALU_DEP_1)
	v_add_f64_e32 v[162:163], v[176:177], v[162:163]
	v_mul_f64_e32 v[176:177], s[16:17], v[8:9]
	v_fma_f64 v[190:191], v[207:208], s[2:3], -v[176:177]
	s_delay_alu instid0(VALU_DEP_1) | instskip(SKIP_2) | instid1(VALU_DEP_2)
	v_add_f64_e32 v[160:161], v[190:191], v[160:161]
	v_mul_f64_e32 v[190:191], s[16:17], v[65:66]
	v_fma_f64 v[65:66], v[223:224], s[26:27], v[63:64]
	v_fma_f64 v[170:171], v[205:206], s[2:3], v[190:191]
	s_delay_alu instid0(VALU_DEP_1) | instskip(SKIP_1) | instid1(VALU_DEP_1)
	v_add_f64_e32 v[162:163], v[170:171], v[162:163]
	v_mul_f64_e32 v[170:171], s[24:25], v[172:173]
	v_fma_f64 v[186:187], v[213:214], s[14:15], -v[170:171]
	s_delay_alu instid0(VALU_DEP_1) | instskip(SKIP_1) | instid1(VALU_DEP_1)
	v_add_f64_e32 v[160:161], v[186:187], v[160:161]
	v_mul_f64_e32 v[186:187], s[24:25], v[174:175]
	v_fma_f64 v[174:175], v[209:210], s[14:15], v[186:187]
	s_delay_alu instid0(VALU_DEP_1) | instskip(SKIP_1) | instid1(VALU_DEP_1)
	v_add_f64_e32 v[162:163], v[174:175], v[162:163]
	v_mul_f64_e32 v[174:175], s[52:53], v[35:36]
	v_fma_f64 v[172:173], v[221:222], s[28:29], -v[174:175]
	s_delay_alu instid0(VALU_DEP_1) | instskip(SKIP_4) | instid1(VALU_DEP_1)
	v_add_f64_e32 v[160:161], v[172:173], v[160:161]
	v_mul_f64_e32 v[172:173], s[52:53], v[29:30]
	scratch_load_b64 v[29:30], off, off offset:404 th:TH_LOAD_LU ; 8-byte Folded Reload
	v_add_f64_e32 v[61:62], v[61:62], v[160:161]
	v_fma_f64 v[8:9], v[215:216], s[28:29], v[172:173]
	v_add_f64_e32 v[8:9], v[8:9], v[162:163]
	s_delay_alu instid0(VALU_DEP_1) | instskip(SKIP_1) | instid1(VALU_DEP_1)
	v_add_f64_e32 v[8:9], v[65:66], v[8:9]
	v_mul_f64_e32 v[65:66], s[18:19], v[69:70]
	v_fma_f64 v[69:70], v[229:230], s[10:11], -v[65:66]
	s_delay_alu instid0(VALU_DEP_1) | instskip(SKIP_1) | instid1(VALU_DEP_1)
	v_add_f64_e32 v[162:163], v[69:70], v[61:62]
	v_fma_f64 v[61:62], v[227:228], s[10:11], v[67:68]
	v_add_f64_e32 v[160:161], v[61:62], v[8:9]
	v_fma_f64 v[8:9], v[198:199], s[30:31], v[39:40]
	v_fma_f64 v[39:40], v[196:197], s[30:31], -v[166:167]
	v_fma_f64 v[61:62], v[202:203], s[22:23], v[164:165]
	s_wait_loadcnt 0x0
	s_delay_alu instid0(VALU_DEP_3)
	v_add_f64_e32 v[8:9], v[8:9], v[29:30]
	scratch_load_b64 v[29:30], off, off offset:396 th:TH_LOAD_LU ; 8-byte Folded Reload
	v_add_f64_e32 v[8:9], v[61:62], v[8:9]
	v_fma_f64 v[61:62], v[200:201], s[22:23], -v[168:169]
	s_wait_loadcnt 0x0
	v_add_f64_e32 v[39:40], v[39:40], v[29:30]
	scratch_load_b64 v[29:30], off, off offset:388 th:TH_LOAD_LU ; 8-byte Folded Reload
	v_add_f64_e32 v[39:40], v[61:62], v[39:40]
	v_fma_f64 v[61:62], v[207:208], s[2:3], v[176:177]
	s_delay_alu instid0(VALU_DEP_1) | instskip(SKIP_1) | instid1(VALU_DEP_1)
	v_add_f64_e32 v[8:9], v[61:62], v[8:9]
	v_fma_f64 v[61:62], v[205:206], s[2:3], -v[190:191]
	v_add_f64_e32 v[39:40], v[61:62], v[39:40]
	v_fma_f64 v[61:62], v[213:214], s[14:15], v[170:171]
	s_delay_alu instid0(VALU_DEP_1) | instskip(SKIP_1) | instid1(VALU_DEP_1)
	v_add_f64_e32 v[8:9], v[61:62], v[8:9]
	v_fma_f64 v[61:62], v[209:210], s[14:15], -v[186:187]
	v_add_f64_e32 v[39:40], v[61:62], v[39:40]
	v_fma_f64 v[61:62], v[221:222], s[28:29], v[174:175]
	s_delay_alu instid0(VALU_DEP_1) | instskip(SKIP_1) | instid1(VALU_DEP_2)
	v_add_f64_e32 v[8:9], v[61:62], v[8:9]
	v_fma_f64 v[61:62], v[215:216], s[28:29], -v[172:173]
	v_add_f64_e32 v[8:9], v[59:60], v[8:9]
	s_delay_alu instid0(VALU_DEP_2) | instskip(SKIP_2) | instid1(VALU_DEP_2)
	v_add_f64_e32 v[39:40], v[61:62], v[39:40]
	v_fma_f64 v[59:60], v[223:224], s[26:27], -v[63:64]
	v_fma_f64 v[61:62], v[227:228], s[10:11], -v[67:68]
	v_add_f64_e32 v[39:40], v[59:60], v[39:40]
	v_fma_f64 v[59:60], v[229:230], s[10:11], v[65:66]
	s_delay_alu instid0(VALU_DEP_2) | instskip(NEXT) | instid1(VALU_DEP_2)
	v_add_f64_e32 v[164:165], v[61:62], v[39:40]
	v_add_f64_e32 v[166:167], v[59:60], v[8:9]
	v_fma_f64 v[8:9], v[198:199], s[14:15], v[178:179]
	v_fma_f64 v[39:40], v[196:197], s[14:15], -v[188:189]
	v_fma_f64 v[59:60], v[202:203], s[20:21], v[233:234]
	s_wait_loadcnt 0x0
	s_delay_alu instid0(VALU_DEP_3)
	v_add_f64_e32 v[8:9], v[8:9], v[29:30]
	scratch_load_b64 v[29:30], off, off offset:380 th:TH_LOAD_LU ; 8-byte Folded Reload
	v_add_f64_e32 v[8:9], v[59:60], v[8:9]
	s_wait_loadcnt 0x0
	v_add_f64_e32 v[39:40], v[39:40], v[29:30]
	v_fma_f64 v[29:30], v[227:228], s[22:23], -v[88:89]
	s_delay_alu instid0(VALU_DEP_2) | instskip(SKIP_1) | instid1(VALU_DEP_1)
	v_add_f64_e32 v[0:1], v[0:1], v[39:40]
	v_fma_f64 v[39:40], v[207:208], s[26:27], v[237:238]
	v_add_f64_e32 v[8:9], v[39:40], v[8:9]
	v_fma_f64 v[39:40], v[205:206], s[26:27], -v[241:242]
	v_mov_b32_e32 v242, v71
	s_delay_alu instid0(VALU_DEP_2) | instskip(SKIP_1) | instid1(VALU_DEP_1)
	v_add_f64_e32 v[0:1], v[39:40], v[0:1]
	v_fma_f64 v[39:40], v[213:214], s[2:3], v[245:246]
	v_add_f64_e32 v[8:9], v[39:40], v[8:9]
	v_fma_f64 v[39:40], v[209:210], s[2:3], -v[249:250]
	s_delay_alu instid0(VALU_DEP_1) | instskip(SKIP_1) | instid1(VALU_DEP_2)
	v_add_f64_e32 v[0:1], v[39:40], v[0:1]
	v_fma_f64 v[39:40], v[221:222], s[30:31], v[251:252]
	v_add_f64_e32 v[0:1], v[27:28], v[0:1]
	s_delay_alu instid0(VALU_DEP_2)
	v_add_f64_e32 v[8:9], v[39:40], v[8:9]
	v_fma_f64 v[27:28], v[225:226], s[10:11], v[72:73]
	v_mov_b32_e32 v71, v74
	v_dual_mov_b32 v72, v75 :: v_dual_mov_b32 v73, v76
	v_dual_mov_b32 v74, v77 :: v_dual_mov_b32 v75, v78
	;; [unrolled: 1-line block ×3, first 2 shown]
	v_mov_b32_e32 v78, v81
	v_add_f64_e32 v[8:9], v[27:28], v[8:9]
	v_fma_f64 v[27:28], v[223:224], s[10:11], -v[86:87]
	s_delay_alu instid0(VALU_DEP_1) | instskip(SKIP_1) | instid1(VALU_DEP_2)
	v_add_f64_e32 v[0:1], v[27:28], v[0:1]
	v_fma_f64 v[27:28], v[229:230], s[22:23], v[33:34]
	v_add_f64_e32 v[168:169], v[29:30], v[0:1]
	v_fma_f64 v[0:1], v[198:199], s[28:29], v[2:3]
	scratch_load_b64 v[2:3], off, off offset:372 th:TH_LOAD_LU ; 8-byte Folded Reload
	v_add_f64_e32 v[170:171], v[27:28], v[8:9]
	s_clause 0x1
	scratch_load_b64 v[8:9], off, off offset:364 th:TH_LOAD_LU
	scratch_load_b64 v[27:28], off, off offset:348 th:TH_LOAD_LU
	s_wait_loadcnt 0x2
	v_add_f64_e32 v[0:1], v[0:1], v[2:3]
	v_fma_f64 v[2:3], v[196:197], s[28:29], -v[37:38]
	s_wait_loadcnt 0x1
	s_delay_alu instid0(VALU_DEP_1) | instskip(SKIP_1) | instid1(VALU_DEP_1)
	v_add_f64_e32 v[2:3], v[2:3], v[8:9]
	v_fma_f64 v[8:9], v[202:203], s[10:11], v[41:42]
	v_add_f64_e32 v[0:1], v[8:9], v[0:1]
	v_fma_f64 v[8:9], v[200:201], s[10:11], -v[43:44]
	s_delay_alu instid0(VALU_DEP_1) | instskip(SKIP_1) | instid1(VALU_DEP_1)
	v_add_f64_e32 v[2:3], v[8:9], v[2:3]
	v_fma_f64 v[8:9], v[207:208], s[14:15], v[45:46]
	v_add_f64_e32 v[0:1], v[8:9], v[0:1]
	v_fma_f64 v[8:9], v[205:206], s[14:15], -v[47:48]
	;; [unrolled: 5-line block ×5, first 2 shown]
	s_delay_alu instid0(VALU_DEP_1) | instskip(SKIP_1) | instid1(VALU_DEP_2)
	v_add_f64_e32 v[2:3], v[8:9], v[2:3]
	v_fma_f64 v[8:9], v[229:230], s[26:27], v[57:58]
	v_add_f64_e32 v[172:173], v[12:13], v[2:3]
	s_delay_alu instid0(VALU_DEP_2)
	v_add_f64_e32 v[174:175], v[8:9], v[0:1]
	s_clause 0x2
	scratch_load_b64 v[0:1], off, off offset:412 th:TH_LOAD_LU
	scratch_load_b64 v[2:3], off, off offset:420 th:TH_LOAD_LU
	scratch_load_b64 v[12:13], off, off offset:356 th:TH_LOAD_LU
	v_fma_f64 v[8:9], v[202:203], s[2:3], v[192:193]
	s_wait_loadcnt 0x2
	v_fma_f64 v[0:1], v[198:199], s[22:23], v[0:1]
	s_wait_loadcnt 0x1
	v_fma_f64 v[2:3], v[196:197], s[22:23], -v[2:3]
	s_wait_loadcnt 0x0
	s_delay_alu instid0(VALU_DEP_2) | instskip(SKIP_1) | instid1(VALU_DEP_3)
	v_add_f64_e32 v[0:1], v[0:1], v[12:13]
	v_fma_f64 v[12:13], v[200:201], s[2:3], -v[194:195]
	v_add_f64_e32 v[2:3], v[2:3], v[27:28]
	v_fma_f64 v[27:28], v[207:208], s[28:29], v[211:212]
	s_delay_alu instid0(VALU_DEP_4) | instskip(SKIP_1) | instid1(VALU_DEP_4)
	v_add_f64_e32 v[0:1], v[8:9], v[0:1]
	v_fma_f64 v[8:9], v[205:206], s[28:29], -v[217:218]
	v_add_f64_e32 v[2:3], v[12:13], v[2:3]
	v_fma_f64 v[12:13], v[213:214], s[20:21], v[253:254]
	s_delay_alu instid0(VALU_DEP_4) | instskip(SKIP_1) | instid1(VALU_DEP_4)
	;; [unrolled: 5-line block ×5, first 2 shown]
	v_add_f64_e32 v[0:1], v[27:28], v[0:1]
	v_fma_f64 v[27:28], v[227:228], s[14:15], -v[10:11]
	v_add_f64_e32 v[2:3], v[8:9], v[2:3]
	s_delay_alu instid0(VALU_DEP_3) | instskip(SKIP_1) | instid1(VALU_DEP_3)
	v_add_f64_e32 v[10:11], v[12:13], v[0:1]
	v_mul_lo_u16 v0, v243, 17
	v_add_f64_e32 v[8:9], v[27:28], v[2:3]
	scratch_load_b128 v[27:30], off, off offset:332 th:TH_LOAD_LU ; 16-byte Folded Reload
	v_dual_mov_b32 v79, v82 :: v_dual_and_b32 v0, 0xffff, v0
	v_dual_mov_b32 v80, v83 :: v_dual_mov_b32 v81, v84
	v_mov_b32_e32 v82, v85
	s_delay_alu instid0(VALU_DEP_3)
	v_lshl_add_u32 v0, v0, 4, v244
	s_wait_loadcnt 0x0
	ds_store_b128 v0, v[27:30]
	ds_store_b128 v0, v[15:18] offset:16
	ds_store_b128 v0, v[156:159] offset:32
	;; [unrolled: 1-line block ×16, first 2 shown]
.LBB0_17:
	s_wait_alu 0xfffe
	s_or_b32 exec_lo, exec_lo, s1
	global_wb scope:SCOPE_SE
	s_wait_storecnt_dscnt 0x0
	s_barrier_signal -1
	s_barrier_wait -1
	global_inv scope:SCOPE_SE
	ds_load_b128 v[0:3], v204 offset:9520
	ds_load_b128 v[4:7], v204 offset:10880
	;; [unrolled: 1-line block ×8, first 2 shown]
	s_clause 0x3
	scratch_load_b128 v[53:56], off, off offset:24 th:TH_LOAD_LU
	scratch_load_b128 v[65:68], off, off offset:104 th:TH_LOAD_LU
	;; [unrolled: 1-line block ×4, first 2 shown]
	s_wait_loadcnt_dscnt 0x203
	v_mul_f64_e32 v[41:42], v[67:68], v[21:22]
	v_mul_f64_e32 v[43:44], v[67:68], v[19:20]
	scratch_load_b128 v[67:70], off, off offset:56 th:TH_LOAD_LU ; 16-byte Folded Reload
	v_mul_f64_e32 v[12:13], v[55:56], v[2:3]
	v_mul_f64_e32 v[27:28], v[55:56], v[0:1]
	scratch_load_b128 v[55:58], off, off offset:8 th:TH_LOAD_LU ; 16-byte Folded Reload
	s_wait_loadcnt_dscnt 0x301
	v_mul_f64_e32 v[49:50], v[146:147], v[134:135]
	v_mul_f64_e32 v[51:52], v[146:147], v[132:133]
	s_wait_loadcnt 0x2
	v_mul_f64_e32 v[37:38], v[63:64], v[17:18]
	v_mul_f64_e32 v[39:40], v[63:64], v[15:16]
	v_fma_f64 v[63:64], v[65:66], v[19:20], v[41:42]
	v_fma_f64 v[65:66], v[65:66], v[21:22], -v[43:44]
	v_fma_f64 v[12:13], v[53:54], v[0:1], v[12:13]
	v_fma_f64 v[53:54], v[53:54], v[2:3], -v[27:28]
	s_wait_loadcnt 0x1
	v_mul_f64_e32 v[45:46], v[69:70], v[25:26]
	v_mul_f64_e32 v[47:48], v[69:70], v[23:24]
	v_fma_f64 v[69:70], v[144:145], v[134:135], -v[51:52]
	s_wait_loadcnt 0x0
	v_mul_f64_e32 v[29:30], v[57:58], v[6:7]
	v_mul_f64_e32 v[31:32], v[57:58], v[4:5]
	scratch_load_b128 v[57:60], off, off offset:72 th:TH_LOAD_LU ; 16-byte Folded Reload
	v_fma_f64 v[23:24], v[67:68], v[23:24], v[45:46]
	v_fma_f64 v[25:26], v[67:68], v[25:26], -v[47:48]
	v_fma_f64 v[67:68], v[144:145], v[132:133], v[49:50]
	v_fma_f64 v[4:5], v[55:56], v[4:5], v[29:30]
	v_fma_f64 v[6:7], v[55:56], v[6:7], -v[31:32]
	s_wait_loadcnt 0x0
	v_mul_f64_e32 v[33:34], v[59:60], v[10:11]
	v_mul_f64_e32 v[35:36], v[59:60], v[8:9]
	v_fma_f64 v[59:60], v[61:62], v[15:16], v[37:38]
	v_fma_f64 v[61:62], v[61:62], v[17:18], -v[39:40]
	s_delay_alu instid0(VALU_DEP_4) | instskip(NEXT) | instid1(VALU_DEP_4)
	v_fma_f64 v[55:56], v[57:58], v[8:9], v[33:34]
	v_fma_f64 v[57:58], v[57:58], v[10:11], -v[35:36]
	ds_load_b128 v[0:3], v204
	ds_load_b128 v[8:11], v204 offset:1360
	ds_load_b128 v[15:18], v204 offset:2720
	ds_load_b128 v[19:22], v204 offset:4080
	ds_load_b128 v[28:31], v204 offset:5440
	ds_load_b128 v[32:35], v204 offset:6800
	global_wb scope:SCOPE_SE
	s_wait_dscnt 0x0
	s_barrier_signal -1
	s_barrier_wait -1
	global_inv scope:SCOPE_SE
	v_add_f64_e64 v[36:37], v[0:1], -v[12:13]
	scratch_load_b32 v12, off, off offset:140 th:TH_LOAD_LU ; 4-byte Folded Reload
	v_add_f64_e64 v[38:39], v[2:3], -v[53:54]
	v_add_f64_e64 v[40:41], v[8:9], -v[4:5]
	;; [unrolled: 1-line block ×13, first 2 shown]
	v_fma_f64 v[144:145], v[0:1], 2.0, -v[36:37]
	v_fma_f64 v[146:147], v[2:3], 2.0, -v[38:39]
	;; [unrolled: 1-line block ×12, first 2 shown]
	s_wait_loadcnt 0x0
	ds_store_b128 v12, v[144:147]
	ds_store_b128 v12, v[36:39] offset:272
	scratch_load_b32 v12, off, off offset:144 th:TH_LOAD_LU ; 4-byte Folded Reload
	v_fma_f64 v[15:16], v[15:16], 2.0, -v[44:45]
	v_fma_f64 v[17:18], v[17:18], 2.0, -v[46:47]
	s_wait_loadcnt 0x0
	ds_store_b128 v12, v[8:11]
	ds_store_b128 v12, v[40:43] offset:272
	scratch_load_b32 v8, off, off offset:136 th:TH_LOAD_LU ; 4-byte Folded Reload
	s_wait_loadcnt 0x0
	ds_store_b128 v8, v[15:18]
	ds_store_b128 v8, v[44:47] offset:272
	scratch_load_b32 v8, off, off offset:132 th:TH_LOAD_LU ; 4-byte Folded Reload
	;; [unrolled: 4-line block ×5, first 2 shown]
	s_wait_loadcnt 0x0
	ds_store_b128 v8, v[28:31]
	ds_store_b128 v8, v[24:27] offset:272
	global_wb scope:SCOPE_SE
	s_wait_dscnt 0x0
	s_barrier_signal -1
	s_barrier_wait -1
	global_inv scope:SCOPE_SE
	ds_load_b128 v[36:39], v204
	ds_load_b128 v[32:35], v204 offset:1360
	ds_load_b128 v[140:143], v204 offset:3808
	;; [unrolled: 1-line block ×9, first 2 shown]
	s_and_saveexec_b32 s1, s0
	s_cbranch_execz .LBB0_19
; %bb.18:
	ds_load_b128 v[0:3], v204 offset:2720
	ds_load_b128 v[4:7], v204 offset:6528
	;; [unrolled: 1-line block ×5, first 2 shown]
.LBB0_19:
	s_wait_alu 0xfffe
	s_or_b32 exec_lo, exec_lo, s1
	s_clause 0x2
	scratch_load_b128 v[156:159], off, off offset:148 th:TH_LOAD_LU
	scratch_load_b128 v[162:165], off, off offset:180 th:TH_LOAD_LU
	;; [unrolled: 1-line block ×3, first 2 shown]
	s_wait_dscnt 0x7
	v_mul_f64_e32 v[8:9], v[81:82], v[142:143]
	s_wait_dscnt 0x3
	v_mul_f64_e32 v[12:13], v[73:74], v[150:151]
	;; [unrolled: 2-line block ×3, first 2 shown]
	v_mul_f64_e32 v[21:22], v[73:74], v[148:149]
	v_mul_f64_e32 v[52:53], v[77:78], v[152:153]
	v_mul_f64_e32 v[15:16], v[81:82], v[140:141]
	s_mov_b32 s2, 0x134454ff
	s_mov_b32 s3, 0xbfee6f0e
	;; [unrolled: 1-line block ×3, first 2 shown]
	s_wait_alu 0xfffe
	s_mov_b32 s10, s2
	s_mov_b32 s16, 0x4755a5e
	;; [unrolled: 1-line block ×4, first 2 shown]
	s_wait_alu 0xfffe
	s_mov_b32 s14, s16
	s_mov_b32 s18, 0x372fe950
	;; [unrolled: 1-line block ×3, first 2 shown]
	scratch_load_b128 v[166:169], off, off offset:196 th:TH_LOAD_LU ; 16-byte Folded Reload
	v_fma_f64 v[8:9], v[79:80], v[140:141], v[8:9]
	v_fma_f64 v[12:13], v[71:72], v[148:149], v[12:13]
	;; [unrolled: 1-line block ×3, first 2 shown]
	v_fma_f64 v[21:22], v[71:72], v[150:151], -v[21:22]
	v_fma_f64 v[52:53], v[75:76], v[154:155], -v[52:53]
	;; [unrolled: 1-line block ×3, first 2 shown]
	v_add_f64_e32 v[74:75], v[36:37], v[8:9]
	s_delay_alu instid0(VALU_DEP_3) | instskip(NEXT) | instid1(VALU_DEP_3)
	v_add_f64_e64 v[150:151], v[52:53], -v[21:22]
	v_add_f64_e32 v[80:81], v[38:39], v[15:16]
	v_add_f64_e64 v[76:77], v[15:16], -v[52:53]
	v_add_f64_e64 v[152:153], v[21:22], -v[52:53]
	s_wait_loadcnt 0x3
	v_mul_f64_e32 v[10:11], v[158:159], v[146:147]
	v_mul_f64_e32 v[19:20], v[158:159], v[144:145]
	scratch_load_b128 v[158:161], off, off offset:164 th:TH_LOAD_LU ; 16-byte Folded Reload
	s_wait_loadcnt 0x3
	v_mul_f64_e32 v[56:57], v[164:165], v[46:47]
	s_wait_loadcnt 0x2
	v_mul_f64_e32 v[60:61], v[172:173], v[40:41]
	v_mul_f64_e32 v[64:65], v[164:165], v[44:45]
	;; [unrolled: 1-line block ×3, first 2 shown]
	global_wb scope:SCOPE_SE
	s_wait_loadcnt_dscnt 0x0
	s_barrier_signal -1
	s_barrier_wait -1
	global_inv scope:SCOPE_SE
	v_mul_f64_e32 v[68:69], v[168:169], v[132:133]
	v_mul_f64_e32 v[62:63], v[168:169], v[134:135]
	v_fma_f64 v[10:11], v[156:157], v[144:145], v[10:11]
	v_fma_f64 v[19:20], v[156:157], v[146:147], -v[19:20]
	v_add_f64_e64 v[144:145], v[17:18], -v[12:13]
	v_fma_f64 v[44:45], v[162:163], v[44:45], v[56:57]
	v_fma_f64 v[42:43], v[170:171], v[42:43], -v[60:61]
	v_fma_f64 v[46:47], v[162:163], v[46:47], -v[64:65]
	v_add_f64_e32 v[60:61], v[8:9], v[17:18]
	v_fma_f64 v[40:41], v[170:171], v[40:41], v[54:55]
	v_add_f64_e64 v[146:147], v[12:13], -v[17:18]
	v_add_f64_e32 v[64:65], v[15:16], v[52:53]
	v_fma_f64 v[56:57], v[166:167], v[134:135], -v[68:69]
	v_fma_f64 v[54:55], v[166:167], v[132:133], v[62:63]
	v_add_f64_e64 v[134:135], v[8:9], -v[17:18]
	v_add_f64_e32 v[62:63], v[19:20], v[21:22]
	v_add_f64_e64 v[78:79], v[19:20], -v[21:22]
	v_add_f64_e64 v[148:149], v[15:16], -v[19:20]
	v_add_f64_e32 v[132:133], v[34:35], v[42:43]
	v_add_f64_e64 v[15:16], v[19:20], -v[15:16]
	v_add_f64_e32 v[19:20], v[80:81], v[19:20]
	v_add_f64_e32 v[82:83], v[32:33], v[40:41]
	v_add_f64_e64 v[154:155], v[40:41], -v[44:45]
	v_add_f64_e32 v[72:73], v[42:43], v[56:57]
	v_add_f64_e32 v[68:69], v[40:41], v[54:55]
	v_add_f64_e64 v[140:141], v[42:43], -v[56:57]
	v_add_f64_e64 v[142:143], v[40:41], -v[54:55]
	;; [unrolled: 1-line block ×3, first 2 shown]
	v_fma_f64 v[62:63], v[62:63], -0.5, v[38:39]
	v_fma_f64 v[38:39], v[64:65], -0.5, v[38:39]
	v_mul_f64_e32 v[66:67], v[160:161], v[48:49]
	v_mul_f64_e32 v[58:59], v[160:161], v[50:51]
	v_add_f64_e64 v[160:161], v[42:43], -v[46:47]
	v_add_f64_e64 v[42:43], v[46:47], -v[42:43]
	s_delay_alu instid0(VALU_DEP_4) | instskip(NEXT) | instid1(VALU_DEP_4)
	v_fma_f64 v[50:51], v[158:159], v[50:51], -v[66:67]
	v_fma_f64 v[48:49], v[158:159], v[48:49], v[58:59]
	v_add_f64_e32 v[58:59], v[10:11], v[12:13]
	s_delay_alu instid0(VALU_DEP_3) | instskip(NEXT) | instid1(VALU_DEP_3)
	v_add_f64_e32 v[70:71], v[46:47], v[50:51]
	v_add_f64_e32 v[66:67], v[44:45], v[48:49]
	s_delay_alu instid0(VALU_DEP_3)
	v_fma_f64 v[58:59], v[58:59], -0.5, v[36:37]
	v_fma_f64 v[36:37], v[60:61], -0.5, v[36:37]
	v_add_f64_e64 v[60:61], v[10:11], -v[12:13]
	v_add_f64_e64 v[64:65], v[46:47], -v[50:51]
	v_add_f64_e32 v[46:47], v[132:133], v[46:47]
	v_add_f64_e64 v[156:157], v[54:55], -v[48:49]
	v_add_f64_e64 v[164:165], v[50:51], -v[56:57]
	;; [unrolled: 1-line block ×4, first 2 shown]
	v_fma_f64 v[70:71], v[70:71], -0.5, v[34:35]
	v_fma_f64 v[34:35], v[72:73], -0.5, v[34:35]
	v_add_f64_e64 v[72:73], v[8:9], -v[10:11]
	v_add_f64_e64 v[8:9], v[10:11], -v[8:9]
	v_add_f64_e32 v[10:11], v[74:75], v[10:11]
	v_fma_f64 v[66:67], v[66:67], -0.5, v[32:33]
	v_fma_f64 v[32:33], v[68:69], -0.5, v[32:33]
	v_add_f64_e64 v[68:69], v[44:45], -v[48:49]
	v_add_f64_e32 v[44:45], v[82:83], v[44:45]
	v_fma_f64 v[74:75], v[76:77], s[2:3], v[58:59]
	v_fma_f64 v[82:83], v[134:135], s[10:11], v[62:63]
	;; [unrolled: 1-line block ×10, first 2 shown]
	v_add_f64_e32 v[72:73], v[72:73], v[144:145]
	v_add_f64_e32 v[144:145], v[8:9], v[146:147]
	v_add_f64_e32 v[8:9], v[10:11], v[12:13]
	scratch_load_b32 v13, off, off offset:232 th:TH_LOAD_LU ; 4-byte Folded Reload
	v_add_f64_e32 v[11:12], v[19:20], v[21:22]
	v_add_f64_e32 v[146:147], v[148:149], v[150:151]
	;; [unrolled: 1-line block ×3, first 2 shown]
	v_fma_f64 v[21:22], v[78:79], s[16:17], v[74:75]
	s_wait_alu 0xfffe
	v_fma_f64 v[46:47], v[60:61], s[14:15], v[82:83]
	v_add_f64_e32 v[148:149], v[15:16], v[152:153]
	v_add_f64_e32 v[150:151], v[154:155], v[156:157]
	;; [unrolled: 1-line block ×3, first 2 shown]
	v_fma_f64 v[42:43], v[76:77], s[16:17], v[80:81]
	v_fma_f64 v[50:51], v[134:135], s[14:15], v[132:133]
	;; [unrolled: 1-line block ×6, first 2 shown]
	v_add_f64_e32 v[152:153], v[40:41], v[158:159]
	v_add_f64_e32 v[15:16], v[44:45], v[48:49]
	v_fma_f64 v[40:41], v[78:79], s[14:15], v[58:59]
	v_fma_f64 v[44:45], v[76:77], s[14:15], v[36:37]
	;; [unrolled: 1-line block ×6, first 2 shown]
	v_add_f64_e32 v[154:155], v[160:161], v[162:163]
	v_fma_f64 v[74:75], v[68:69], s[14:15], v[170:171]
	v_fma_f64 v[68:69], v[68:69], s[16:17], v[70:71]
	v_add_f64_e32 v[9:10], v[8:9], v[17:18]
	v_add_nc_u32_e32 v8, 0x550, v14
	v_add_f64_e32 v[11:12], v[11:12], v[52:53]
	v_add_f64_e32 v[17:18], v[19:20], v[56:57]
	v_fma_f64 v[19:20], v[72:73], s[18:19], v[21:22]
	v_fma_f64 v[21:22], v[146:147], s[18:19], v[46:47]
	;; [unrolled: 1-line block ×8, first 2 shown]
	v_add_f64_e32 v[15:16], v[15:16], v[54:55]
	v_fma_f64 v[32:33], v[72:73], s[18:19], v[40:41]
	v_fma_f64 v[40:41], v[144:145], s[18:19], v[44:45]
	;; [unrolled: 1-line block ×6, first 2 shown]
	s_wait_loadcnt 0x0
	ds_store_b128 v13, v[9:12]
	ds_store_b128 v13, v[19:22] offset:544
	ds_store_b128 v13, v[36:39] offset:1088
	;; [unrolled: 1-line block ×4, first 2 shown]
	scratch_load_b32 v9, off, off offset:228 th:TH_LOAD_LU ; 4-byte Folded Reload
	v_fma_f64 v[44:45], v[150:151], s[18:19], v[60:61]
	v_fma_f64 v[46:47], v[154:155], s[18:19], v[74:75]
	;; [unrolled: 1-line block ×8, first 2 shown]
	s_wait_loadcnt 0x0
	ds_store_b128 v9, v[15:18]
	ds_store_b128 v9, v[44:47] offset:544
	ds_store_b128 v9, v[52:55] offset:1088
	;; [unrolled: 1-line block ×4, first 2 shown]
	s_and_saveexec_b32 s1, s0
	s_cbranch_execz .LBB0_21
; %bb.20:
	s_clause 0x4
	scratch_load_b128 v[40:43], off, off offset:284 th:TH_LOAD_LU
	scratch_load_b128 v[36:39], off, off offset:268 th:TH_LOAD_LU
	scratch_load_b128 v[48:51], off, off offset:316 th:TH_LOAD_LU
	scratch_load_b128 v[44:47], off, off offset:300 th:TH_LOAD_LU
	scratch_load_b32 v13, off, off th:TH_LOAD_LU
	s_wait_loadcnt 0x4
	v_mul_f64_e32 v[9:10], v[42:43], v[28:29]
	s_wait_loadcnt 0x3
	v_mul_f64_e32 v[17:18], v[38:39], v[24:25]
	;; [unrolled: 2-line block ×4, first 2 shown]
	v_mul_f64_e32 v[19:20], v[42:43], v[30:31]
	v_mul_f64_e32 v[21:22], v[38:39], v[26:27]
	;; [unrolled: 1-line block ×4, first 2 shown]
	v_fma_f64 v[9:10], v[40:41], v[30:31], -v[9:10]
	v_fma_f64 v[6:7], v[48:49], v[6:7], -v[11:12]
	v_fma_f64 v[11:12], v[44:45], v[138:139], -v[15:16]
	v_fma_f64 v[15:16], v[36:37], v[26:27], -v[17:18]
	v_fma_f64 v[17:18], v[40:41], v[28:29], v[19:20]
	v_fma_f64 v[19:20], v[36:37], v[24:25], v[21:22]
	;; [unrolled: 1-line block ×4, first 2 shown]
	v_add_f64_e32 v[35:36], v[2:3], v[6:7]
	v_add_f64_e32 v[23:24], v[6:7], v[11:12]
	v_add_f64_e32 v[25:26], v[9:10], v[15:16]
	v_add_f64_e64 v[39:40], v[6:7], -v[11:12]
	v_add_f64_e32 v[27:28], v[17:18], v[19:20]
	v_add_f64_e64 v[31:32], v[17:18], -v[19:20]
	v_add_f64_e32 v[29:30], v[4:5], v[21:22]
	;; [unrolled: 2-line block ×3, first 2 shown]
	v_add_f64_e64 v[41:42], v[15:16], -v[11:12]
	v_add_f64_e64 v[43:44], v[11:12], -v[15:16]
	;; [unrolled: 1-line block ×6, first 2 shown]
	v_fma_f64 v[23:24], v[23:24], -0.5, v[2:3]
	v_fma_f64 v[2:3], v[25:26], -0.5, v[2:3]
	v_add_f64_e64 v[25:26], v[9:10], -v[15:16]
	v_fma_f64 v[27:28], v[27:28], -0.5, v[0:1]
	v_fma_f64 v[0:1], v[29:30], -0.5, v[0:1]
	v_add_f64_e64 v[29:30], v[9:10], -v[6:7]
	v_add_f64_e64 v[6:7], v[6:7], -v[9:10]
	v_add_f64_e32 v[9:10], v[35:36], v[9:10]
	v_add_f64_e32 v[17:18], v[37:38], v[17:18]
	v_fma_f64 v[35:36], v[31:32], s[10:11], v[23:24]
	v_fma_f64 v[23:24], v[31:32], s[2:3], v[23:24]
	;; [unrolled: 1-line block ×7, first 2 shown]
	v_add_f64_e32 v[29:30], v[29:30], v[41:42]
	v_add_f64_e32 v[41:42], v[6:7], v[43:44]
	;; [unrolled: 1-line block ×6, first 2 shown]
	v_fma_f64 v[27:28], v[39:40], s[10:11], v[27:28]
	v_fma_f64 v[9:10], v[33:34], s[16:17], v[35:36]
	;; [unrolled: 1-line block ×8, first 2 shown]
	v_add_f64_e32 v[2:3], v[4:5], v[11:12]
	v_add_f64_e32 v[0:1], v[6:7], v[21:22]
	v_fma_f64 v[25:26], v[25:26], s[14:15], v[27:28]
	v_fma_f64 v[6:7], v[29:30], s[18:19], v[9:10]
	v_fma_f64 v[11:12], v[29:30], s[18:19], v[15:16]
	v_fma_f64 v[17:18], v[41:42], s[18:19], v[17:18]
	v_fma_f64 v[21:22], v[41:42], s[18:19], v[19:20]
	v_fma_f64 v[19:20], v[45:46], s[18:19], v[23:24]
	scratch_load_b32 v23, off, off offset:4 th:TH_LOAD_LU ; 4-byte Folded Reload
	v_fma_f64 v[9:10], v[43:44], s[18:19], v[31:32]
	v_fma_f64 v[4:5], v[43:44], s[18:19], v[33:34]
	s_wait_loadcnt 0x1
	v_and_b32_e32 v13, 0xffff, v13
	v_fma_f64 v[15:16], v[45:46], s[18:19], v[25:26]
	s_delay_alu instid0(VALU_DEP_2) | instskip(SKIP_1) | instid1(VALU_DEP_1)
	v_mul_u32_u24_e32 v13, 0xaa, v13
	s_wait_loadcnt 0x0
	v_add_nc_u32_e32 v13, v13, v23
	s_delay_alu instid0(VALU_DEP_1)
	v_lshl_add_u32 v13, v13, 4, v244
	ds_store_b128 v13, v[0:3]
	ds_store_b128 v13, v[19:22] offset:544
	ds_store_b128 v13, v[9:12] offset:1088
	;; [unrolled: 1-line block ×4, first 2 shown]
.LBB0_21:
	s_wait_alu 0xfffe
	s_or_b32 exec_lo, exec_lo, s1
	global_wb scope:SCOPE_SE
	s_wait_dscnt 0x0
	s_barrier_signal -1
	s_barrier_wait -1
	global_inv scope:SCOPE_SE
	ds_load_b128 v[0:3], v204 offset:2720
	ds_load_b128 v[4:7], v204 offset:5440
	;; [unrolled: 1-line block ×8, first 2 shown]
	s_clause 0x1
	scratch_load_b128 v[88:91], off, off offset:252 th:TH_LOAD_LU
	scratch_load_b128 v[83:86], off, off offset:236 th:TH_LOAD_LU
	ds_load_b128 v[35:38], v204 offset:10880
	ds_load_b128 v[39:42], v204 offset:8160
	ds_load_b128 v[43:46], v204 offset:9520
	ds_load_b128 v[47:50], v204 offset:12240
	s_mov_b32 s0, 0x37e14327
	s_mov_b32 s2, 0x36b3c0b5
	;; [unrolled: 1-line block ×9, first 2 shown]
	s_wait_dscnt 0x9
	v_mul_f64_e32 v[59:60], v[94:95], v[11:12]
	v_mul_f64_e32 v[61:62], v[94:95], v[9:10]
	s_wait_dscnt 0x8
	v_mul_f64_e32 v[63:64], v[98:99], v[17:18]
	v_mul_f64_e32 v[65:66], v[98:99], v[15:16]
	;; [unrolled: 3-line block ×7, first 2 shown]
	s_mov_b32 s18, 0xb247c609
	s_mov_b32 s17, 0xbff2aaaa
	;; [unrolled: 1-line block ×4, first 2 shown]
	s_wait_alu 0xfffe
	s_mov_b32 s20, s18
	v_fma_f64 v[9:10], v[92:93], v[9:10], v[59:60]
	v_fma_f64 v[11:12], v[92:93], v[11:12], -v[61:62]
	v_fma_f64 v[15:16], v[96:97], v[15:16], v[63:64]
	v_fma_f64 v[17:18], v[96:97], v[17:18], -v[65:66]
	v_fma_f64 v[19:20], v[104:105], v[19:20], v[67:68]
	v_fma_f64 v[21:22], v[104:105], v[21:22], -v[69:70]
	v_fma_f64 v[23:24], v[100:101], v[23:24], v[71:72]
	v_fma_f64 v[25:26], v[100:101], v[25:26], -v[73:74]
	v_fma_f64 v[27:28], v[116:117], v[27:28], v[75:76]
	v_fma_f64 v[29:30], v[116:117], v[29:30], -v[77:78]
	v_fma_f64 v[31:32], v[128:129], v[31:32], v[79:80]
	v_fma_f64 v[33:34], v[128:129], v[33:34], -v[81:82]
	v_fma_f64 v[35:36], v[120:121], v[35:36], v[94:95]
	v_fma_f64 v[37:38], v[120:121], v[37:38], -v[98:99]
	s_wait_loadcnt 0x1
	v_mul_f64_e32 v[51:52], v[90:91], v[2:3]
	v_mul_f64_e32 v[53:54], v[90:91], v[0:1]
	s_wait_loadcnt 0x0
	v_mul_f64_e32 v[55:56], v[85:86], v[6:7]
	v_mul_f64_e32 v[57:58], v[85:86], v[4:5]
	s_wait_dscnt 0x2
	v_mul_f64_e32 v[86:87], v[126:127], v[41:42]
	v_mul_f64_e32 v[90:91], v[126:127], v[39:40]
	v_fma_f64 v[0:1], v[88:89], v[0:1], v[51:52]
	v_fma_f64 v[2:3], v[88:89], v[2:3], -v[53:54]
	v_fma_f64 v[4:5], v[83:84], v[4:5], v[55:56]
	v_fma_f64 v[6:7], v[83:84], v[6:7], -v[57:58]
	s_wait_dscnt 0x1
	v_mul_f64_e32 v[51:52], v[114:115], v[45:46]
	v_mul_f64_e32 v[53:54], v[114:115], v[43:44]
	s_wait_dscnt 0x0
	v_mul_f64_e32 v[55:56], v[110:111], v[49:50]
	v_mul_f64_e32 v[57:58], v[110:111], v[47:48]
	v_fma_f64 v[39:40], v[124:125], v[39:40], v[86:87]
	v_fma_f64 v[41:42], v[124:125], v[41:42], -v[90:91]
	v_add_f64_e32 v[59:60], v[0:1], v[9:10]
	v_add_f64_e32 v[61:62], v[2:3], v[11:12]
	;; [unrolled: 1-line block ×4, first 2 shown]
	v_fma_f64 v[43:44], v[112:113], v[43:44], v[51:52]
	v_fma_f64 v[45:46], v[112:113], v[45:46], -v[53:54]
	v_fma_f64 v[47:48], v[108:109], v[47:48], v[55:56]
	v_fma_f64 v[49:50], v[108:109], v[49:50], -v[57:58]
	v_add_f64_e32 v[51:52], v[19:20], v[27:28]
	v_add_f64_e32 v[53:54], v[21:22], v[29:30]
	;; [unrolled: 1-line block ×6, first 2 shown]
	v_add_f64_e64 v[15:16], v[4:5], -v[15:16]
	v_add_f64_e64 v[17:18], v[6:7], -v[17:18]
	;; [unrolled: 1-line block ×10, first 2 shown]
	ds_load_b128 v[0:3], v204
	ds_load_b128 v[4:7], v204 offset:1360
	v_add_f64_e32 v[39:40], v[63:64], v[59:60]
	v_add_f64_e32 v[41:42], v[65:66], v[61:62]
	;; [unrolled: 1-line block ×4, first 2 shown]
	v_add_f64_e64 v[43:44], v[47:48], -v[43:44]
	v_add_f64_e64 v[45:46], v[49:50], -v[45:46]
	v_add_f64_e32 v[27:28], v[55:56], v[51:52]
	v_add_f64_e32 v[29:30], v[57:58], v[53:54]
	v_add_f64_e64 v[47:48], v[59:60], -v[67:68]
	v_add_f64_e64 v[49:50], v[61:62], -v[69:70]
	;; [unrolled: 1-line block ×12, first 2 shown]
	v_add_f64_e32 v[15:16], v[35:36], v[15:16]
	v_add_f64_e32 v[17:18], v[37:38], v[17:18]
	v_add_f64_e64 v[35:36], v[9:10], -v[35:36]
	v_add_f64_e64 v[37:38], v[11:12], -v[37:38]
	v_add_f64_e32 v[39:40], v[67:68], v[39:40]
	v_add_f64_e32 v[41:42], v[69:70], v[41:42]
	v_add_f64_e64 v[67:68], v[51:52], -v[31:32]
	v_add_f64_e64 v[69:70], v[53:54], -v[33:34]
	;; [unrolled: 1-line block ×4, first 2 shown]
	v_add_f64_e32 v[27:28], v[31:32], v[27:28]
	v_add_f64_e32 v[29:30], v[33:34], v[29:30]
	v_add_f64_e64 v[31:32], v[31:32], -v[55:56]
	v_add_f64_e64 v[33:34], v[33:34], -v[57:58]
	v_add_f64_e32 v[23:24], v[43:44], v[23:24]
	v_add_f64_e32 v[25:26], v[45:46], v[25:26]
	v_mul_f64_e32 v[47:48], s[0:1], v[47:48]
	v_mul_f64_e32 v[49:50], s[0:1], v[49:50]
	;; [unrolled: 1-line block ×8, first 2 shown]
	v_add_f64_e64 v[43:44], v[19:20], -v[43:44]
	v_add_f64_e64 v[45:46], v[21:22], -v[45:46]
	v_mul_f64_e32 v[95:96], s[14:15], v[87:88]
	v_mul_f64_e32 v[97:98], s[14:15], v[89:90]
	v_add_f64_e64 v[51:52], v[55:56], -v[51:52]
	v_add_f64_e64 v[53:54], v[57:58], -v[53:54]
	v_add_f64_e32 v[9:10], v[15:16], v[9:10]
	v_add_f64_e32 v[11:12], v[17:18], v[11:12]
	s_wait_dscnt 0x1
	v_add_f64_e32 v[0:1], v[0:1], v[39:40]
	v_add_f64_e32 v[2:3], v[2:3], v[41:42]
	v_mul_f64_e32 v[67:68], s[0:1], v[67:68]
	v_mul_f64_e32 v[69:70], s[0:1], v[69:70]
	;; [unrolled: 1-line block ×4, first 2 shown]
	s_wait_dscnt 0x0
	v_add_f64_e32 v[4:5], v[4:5], v[27:28]
	v_add_f64_e32 v[6:7], v[6:7], v[29:30]
	v_mul_f64_e32 v[55:56], s[2:3], v[31:32]
	v_mul_f64_e32 v[57:58], s[2:3], v[33:34]
	s_mov_b32 s0, 0x5476071b
	s_mov_b32 s1, 0x3fe77f67
	;; [unrolled: 1-line block ×3, first 2 shown]
	s_wait_alu 0xfffe
	s_mov_b32 s10, s0
	v_add_f64_e32 v[15:16], v[23:24], v[19:20]
	v_add_f64_e32 v[17:18], v[25:26], v[21:22]
	v_fma_f64 v[19:20], v[71:72], s[2:3], v[47:48]
	v_fma_f64 v[21:22], v[73:74], s[2:3], v[49:50]
	v_fma_f64 v[23:24], v[59:60], s[0:1], -v[63:64]
	v_fma_f64 v[25:26], v[61:62], s[0:1], -v[65:66]
	v_fma_f64 v[63:64], v[35:36], s[18:19], v[75:76]
	v_fma_f64 v[65:66], v[37:38], s[18:19], v[77:78]
	v_fma_f64 v[71:72], v[79:80], s[14:15], -v[75:76]
	v_fma_f64 v[73:74], v[81:82], s[14:15], -v[77:78]
	;; [unrolled: 1-line block ×4, first 2 shown]
	s_wait_alu 0xfffe
	v_fma_f64 v[47:48], v[59:60], s[10:11], -v[47:48]
	v_fma_f64 v[49:50], v[61:62], s[10:11], -v[49:50]
	v_fma_f64 v[39:40], v[39:40], s[16:17], v[0:1]
	v_fma_f64 v[41:42], v[41:42], s[16:17], v[2:3]
	;; [unrolled: 1-line block ×8, first 2 shown]
	v_fma_f64 v[43:44], v[43:44], s[20:21], -v[95:96]
	v_fma_f64 v[45:46], v[45:46], s[20:21], -v[97:98]
	;; [unrolled: 1-line block ×8, first 2 shown]
	s_mov_b32 s0, 0x37c3f68c
	s_mov_b32 s1, 0xbfdc38aa
	s_wait_alu 0xfffe
	v_fma_f64 v[55:56], v[9:10], s[0:1], v[63:64]
	v_fma_f64 v[57:58], v[11:12], s[0:1], v[65:66]
	;; [unrolled: 1-line block ×6, first 2 shown]
	v_add_f64_e32 v[71:72], v[19:20], v[39:40]
	v_add_f64_e32 v[73:74], v[21:22], v[41:42]
	v_add_f64_e32 v[47:48], v[47:48], v[39:40]
	v_add_f64_e32 v[49:50], v[49:50], v[41:42]
	v_add_f64_e32 v[23:24], v[23:24], v[39:40]
	v_add_f64_e32 v[25:26], v[25:26], v[41:42]
	v_fma_f64 v[59:60], v[15:16], s[0:1], v[59:60]
	v_fma_f64 v[61:62], v[17:18], s[0:1], v[61:62]
	v_add_f64_e32 v[83:84], v[31:32], v[27:28]
	v_add_f64_e32 v[85:86], v[33:34], v[29:30]
	v_fma_f64 v[79:80], v[15:16], s[0:1], v[43:44]
	v_fma_f64 v[81:82], v[17:18], s[0:1], v[45:46]
	v_add_f64_e32 v[67:68], v[67:68], v[27:28]
	v_add_f64_e32 v[69:70], v[69:70], v[29:30]
	;; [unrolled: 4-line block ×3, first 2 shown]
	v_add_f64_e32 v[9:10], v[57:58], v[71:72]
	v_add_f64_e64 v[11:12], v[73:74], -v[55:56]
	v_add_f64_e32 v[15:16], v[37:38], v[47:48]
	v_add_f64_e64 v[17:18], v[49:50], -v[35:36]
	v_add_f64_e64 v[19:20], v[23:24], -v[65:66]
	v_add_f64_e32 v[21:22], v[63:64], v[25:26]
	v_add_f64_e32 v[23:24], v[65:66], v[23:24]
	v_add_f64_e64 v[25:26], v[25:26], -v[63:64]
	v_add_f64_e64 v[27:28], v[47:48], -v[37:38]
	v_add_f64_e32 v[29:30], v[35:36], v[49:50]
	v_add_f64_e64 v[31:32], v[71:72], -v[57:58]
	v_add_f64_e32 v[33:34], v[55:56], v[73:74]
	v_add_f64_e32 v[35:36], v[61:62], v[83:84]
	v_add_f64_e64 v[37:38], v[85:86], -v[59:60]
	v_add_f64_e32 v[39:40], v[81:82], v[67:68]
	v_add_f64_e64 v[41:42], v[69:70], -v[79:80]
	v_add_f64_e64 v[43:44], v[51:52], -v[77:78]
	v_add_f64_e32 v[45:46], v[75:76], v[53:54]
	v_add_f64_e32 v[47:48], v[77:78], v[51:52]
	v_add_f64_e64 v[49:50], v[53:54], -v[75:76]
	v_add_f64_e64 v[51:52], v[67:68], -v[81:82]
	v_add_f64_e32 v[53:54], v[79:80], v[69:70]
	v_add_f64_e64 v[55:56], v[83:84], -v[61:62]
	v_add_f64_e32 v[57:58], v[59:60], v[85:86]
	ds_store_b128 v14, v[0:3]
	ds_store_b128 v14, v[4:7] offset:1360
	ds_store_b128 v14, v[9:12] offset:2720
	;; [unrolled: 1-line block ×13, first 2 shown]
	global_wb scope:SCOPE_SE
	s_wait_dscnt 0x0
	s_barrier_signal -1
	s_barrier_wait -1
	global_inv scope:SCOPE_SE
	s_and_b32 exec_lo, exec_lo, vcc_lo
	s_cbranch_execz .LBB0_23
; %bb.22:
	global_load_b128 v[0:3], v255, s[8:9]
	ds_load_b128 v[4:7], v14
	ds_load_b128 v[8:11], v14 offset:1120
	s_mov_b32 s0, 0x1b89401c
	s_mov_b32 s1, 0x3f4b8940
	s_mul_u64 s[2:3], s[4:5], 0x460
	s_wait_loadcnt_dscnt 0x1
	v_mul_f64_e32 v[12:13], v[6:7], v[2:3]
	v_mul_f64_e32 v[2:3], v[4:5], v[2:3]
	s_delay_alu instid0(VALU_DEP_2) | instskip(NEXT) | instid1(VALU_DEP_2)
	v_fma_f64 v[4:5], v[4:5], v[0:1], v[12:13]
	v_fma_f64 v[2:3], v[0:1], v[6:7], -v[2:3]
	v_mad_co_u64_u32 v[6:7], null, s6, v242, 0
	v_mad_co_u64_u32 v[12:13], null, s4, v243, 0
	s_wait_alu 0xfffe
	s_delay_alu instid0(VALU_DEP_4) | instskip(NEXT) | instid1(VALU_DEP_4)
	v_mul_f64_e32 v[0:1], s[0:1], v[4:5]
	v_mul_f64_e32 v[2:3], s[0:1], v[2:3]
	s_delay_alu instid0(VALU_DEP_3) | instskip(NEXT) | instid1(VALU_DEP_1)
	v_dual_mov_b32 v4, v7 :: v_dual_mov_b32 v5, v13
	v_mad_co_u64_u32 v[15:16], null, s7, v242, v[4:5]
	v_mad_co_u64_u32 v[4:5], null, s5, v243, v[5:6]
	s_delay_alu instid0(VALU_DEP_2) | instskip(NEXT) | instid1(VALU_DEP_2)
	v_mov_b32_e32 v7, v15
	v_mov_b32_e32 v13, v4
	s_delay_alu instid0(VALU_DEP_2) | instskip(NEXT) | instid1(VALU_DEP_2)
	v_lshlrev_b64_e32 v[4:5], 4, v[6:7]
	v_lshlrev_b64_e32 v[6:7], 4, v[12:13]
	s_delay_alu instid0(VALU_DEP_2) | instskip(NEXT) | instid1(VALU_DEP_3)
	v_add_co_u32 v4, vcc_lo, s12, v4
	v_add_co_ci_u32_e32 v5, vcc_lo, s13, v5, vcc_lo
	s_delay_alu instid0(VALU_DEP_2) | instskip(SKIP_1) | instid1(VALU_DEP_2)
	v_add_co_u32 v4, vcc_lo, v4, v6
	s_wait_alu 0xfffd
	v_add_co_ci_u32_e32 v5, vcc_lo, v5, v7, vcc_lo
	s_delay_alu instid0(VALU_DEP_2)
	v_add_co_u32 v12, vcc_lo, v4, s2
	global_store_b128 v[4:5], v[0:3], off
	global_load_b128 v[0:3], v255, s[8:9] offset:1120
	s_wait_alu 0xfffd
	v_add_co_ci_u32_e32 v13, vcc_lo, s3, v5, vcc_lo
	s_wait_loadcnt_dscnt 0x0
	v_mul_f64_e32 v[6:7], v[10:11], v[2:3]
	v_mul_f64_e32 v[2:3], v[8:9], v[2:3]
	s_delay_alu instid0(VALU_DEP_2) | instskip(NEXT) | instid1(VALU_DEP_2)
	v_fma_f64 v[6:7], v[8:9], v[0:1], v[6:7]
	v_fma_f64 v[2:3], v[0:1], v[10:11], -v[2:3]
	s_delay_alu instid0(VALU_DEP_2) | instskip(NEXT) | instid1(VALU_DEP_2)
	v_mul_f64_e32 v[0:1], s[0:1], v[6:7]
	v_mul_f64_e32 v[2:3], s[0:1], v[2:3]
	global_store_b128 v[12:13], v[0:3], off
	global_load_b128 v[0:3], v255, s[8:9] offset:2240
	ds_load_b128 v[4:7], v14 offset:2240
	ds_load_b128 v[8:11], v14 offset:3360
	s_wait_loadcnt_dscnt 0x1
	v_mul_f64_e32 v[15:16], v[6:7], v[2:3]
	v_mul_f64_e32 v[2:3], v[4:5], v[2:3]
	s_delay_alu instid0(VALU_DEP_2) | instskip(NEXT) | instid1(VALU_DEP_2)
	v_fma_f64 v[4:5], v[4:5], v[0:1], v[15:16]
	v_fma_f64 v[2:3], v[0:1], v[6:7], -v[2:3]
	s_delay_alu instid0(VALU_DEP_2) | instskip(NEXT) | instid1(VALU_DEP_2)
	v_mul_f64_e32 v[0:1], s[0:1], v[4:5]
	v_mul_f64_e32 v[2:3], s[0:1], v[2:3]
	v_add_co_u32 v4, vcc_lo, v12, s2
	s_wait_alu 0xfffd
	v_add_co_ci_u32_e32 v5, vcc_lo, s3, v13, vcc_lo
	s_delay_alu instid0(VALU_DEP_2) | instskip(SKIP_1) | instid1(VALU_DEP_2)
	v_add_co_u32 v12, vcc_lo, v4, s2
	s_wait_alu 0xfffd
	v_add_co_ci_u32_e32 v13, vcc_lo, s3, v5, vcc_lo
	global_store_b128 v[4:5], v[0:3], off
	global_load_b128 v[0:3], v255, s[8:9] offset:3360
	s_wait_loadcnt_dscnt 0x0
	v_mul_f64_e32 v[6:7], v[10:11], v[2:3]
	v_mul_f64_e32 v[2:3], v[8:9], v[2:3]
	s_delay_alu instid0(VALU_DEP_2) | instskip(NEXT) | instid1(VALU_DEP_2)
	v_fma_f64 v[6:7], v[8:9], v[0:1], v[6:7]
	v_fma_f64 v[2:3], v[0:1], v[10:11], -v[2:3]
	s_delay_alu instid0(VALU_DEP_2) | instskip(NEXT) | instid1(VALU_DEP_2)
	v_mul_f64_e32 v[0:1], s[0:1], v[6:7]
	v_mul_f64_e32 v[2:3], s[0:1], v[2:3]
	global_store_b128 v[12:13], v[0:3], off
	global_load_b128 v[0:3], v255, s[8:9] offset:4480
	ds_load_b128 v[4:7], v14 offset:4480
	ds_load_b128 v[8:11], v14 offset:5600
	s_wait_loadcnt_dscnt 0x1
	v_mul_f64_e32 v[15:16], v[6:7], v[2:3]
	v_mul_f64_e32 v[2:3], v[4:5], v[2:3]
	s_delay_alu instid0(VALU_DEP_2) | instskip(NEXT) | instid1(VALU_DEP_2)
	v_fma_f64 v[4:5], v[4:5], v[0:1], v[15:16]
	v_fma_f64 v[2:3], v[0:1], v[6:7], -v[2:3]
	s_delay_alu instid0(VALU_DEP_2) | instskip(NEXT) | instid1(VALU_DEP_2)
	v_mul_f64_e32 v[0:1], s[0:1], v[4:5]
	v_mul_f64_e32 v[2:3], s[0:1], v[2:3]
	v_add_co_u32 v4, vcc_lo, v12, s2
	s_wait_alu 0xfffd
	v_add_co_ci_u32_e32 v5, vcc_lo, s3, v13, vcc_lo
	s_delay_alu instid0(VALU_DEP_2) | instskip(SKIP_1) | instid1(VALU_DEP_2)
	v_add_co_u32 v12, vcc_lo, v4, s2
	s_wait_alu 0xfffd
	v_add_co_ci_u32_e32 v13, vcc_lo, s3, v5, vcc_lo
	global_store_b128 v[4:5], v[0:3], off
	global_load_b128 v[0:3], v255, s[8:9] offset:5600
	;; [unrolled: 31-line block ×6, first 2 shown]
	s_wait_loadcnt_dscnt 0x0
	v_mul_f64_e32 v[6:7], v[10:11], v[2:3]
	v_mul_f64_e32 v[2:3], v[8:9], v[2:3]
	s_delay_alu instid0(VALU_DEP_2) | instskip(NEXT) | instid1(VALU_DEP_2)
	v_fma_f64 v[6:7], v[8:9], v[0:1], v[6:7]
	v_fma_f64 v[2:3], v[0:1], v[10:11], -v[2:3]
	s_delay_alu instid0(VALU_DEP_2) | instskip(NEXT) | instid1(VALU_DEP_2)
	v_mul_f64_e32 v[0:1], s[0:1], v[6:7]
	v_mul_f64_e32 v[2:3], s[0:1], v[2:3]
	global_store_b128 v[12:13], v[0:3], off
	global_load_b128 v[0:3], v255, s[8:9] offset:15680
	ds_load_b128 v[4:7], v14 offset:15680
	ds_load_b128 v[8:11], v14 offset:16800
	s_wait_loadcnt_dscnt 0x1
	v_mul_f64_e32 v[15:16], v[6:7], v[2:3]
	v_mul_f64_e32 v[2:3], v[4:5], v[2:3]
	s_delay_alu instid0(VALU_DEP_2) | instskip(NEXT) | instid1(VALU_DEP_2)
	v_fma_f64 v[4:5], v[4:5], v[0:1], v[15:16]
	v_fma_f64 v[2:3], v[0:1], v[6:7], -v[2:3]
	s_delay_alu instid0(VALU_DEP_2) | instskip(NEXT) | instid1(VALU_DEP_2)
	v_mul_f64_e32 v[0:1], s[0:1], v[4:5]
	v_mul_f64_e32 v[2:3], s[0:1], v[2:3]
	v_add_co_u32 v4, vcc_lo, v12, s2
	s_wait_alu 0xfffd
	v_add_co_ci_u32_e32 v5, vcc_lo, s3, v13, vcc_lo
	global_store_b128 v[4:5], v[0:3], off
	global_load_b128 v[0:3], v255, s[8:9] offset:16800
	s_wait_loadcnt_dscnt 0x0
	v_mul_f64_e32 v[6:7], v[10:11], v[2:3]
	v_mul_f64_e32 v[2:3], v[8:9], v[2:3]
	s_delay_alu instid0(VALU_DEP_2) | instskip(NEXT) | instid1(VALU_DEP_2)
	v_fma_f64 v[6:7], v[8:9], v[0:1], v[6:7]
	v_fma_f64 v[2:3], v[0:1], v[10:11], -v[2:3]
	v_add_co_u32 v8, vcc_lo, v4, s2
	s_wait_alu 0xfffd
	v_add_co_ci_u32_e32 v9, vcc_lo, s3, v5, vcc_lo
	s_delay_alu instid0(VALU_DEP_4) | instskip(NEXT) | instid1(VALU_DEP_4)
	v_mul_f64_e32 v[0:1], s[0:1], v[6:7]
	v_mul_f64_e32 v[2:3], s[0:1], v[2:3]
	ds_load_b128 v[4:7], v14 offset:17920
	global_store_b128 v[8:9], v[0:3], off
	global_load_b128 v[0:3], v255, s[8:9] offset:17920
	s_wait_loadcnt_dscnt 0x0
	v_mul_f64_e32 v[10:11], v[6:7], v[2:3]
	v_mul_f64_e32 v[2:3], v[4:5], v[2:3]
	s_delay_alu instid0(VALU_DEP_2) | instskip(NEXT) | instid1(VALU_DEP_2)
	v_fma_f64 v[4:5], v[4:5], v[0:1], v[10:11]
	v_fma_f64 v[2:3], v[0:1], v[6:7], -v[2:3]
	s_delay_alu instid0(VALU_DEP_2) | instskip(NEXT) | instid1(VALU_DEP_2)
	v_mul_f64_e32 v[0:1], s[0:1], v[4:5]
	v_mul_f64_e32 v[2:3], s[0:1], v[2:3]
	v_add_co_u32 v4, vcc_lo, v8, s2
	s_wait_alu 0xfffd
	v_add_co_ci_u32_e32 v5, vcc_lo, s3, v9, vcc_lo
	global_store_b128 v[4:5], v[0:3], off
.LBB0_23:
	s_nop 0
	s_sendmsg sendmsg(MSG_DEALLOC_VGPRS)
	s_endpgm
	.section	.rodata,"a",@progbits
	.p2align	6, 0x0
	.amdhsa_kernel bluestein_single_back_len1190_dim1_dp_op_CI_CI
		.amdhsa_group_segment_fixed_size 57120
		.amdhsa_private_segment_fixed_size 432
		.amdhsa_kernarg_size 104
		.amdhsa_user_sgpr_count 2
		.amdhsa_user_sgpr_dispatch_ptr 0
		.amdhsa_user_sgpr_queue_ptr 0
		.amdhsa_user_sgpr_kernarg_segment_ptr 1
		.amdhsa_user_sgpr_dispatch_id 0
		.amdhsa_user_sgpr_private_segment_size 0
		.amdhsa_wavefront_size32 1
		.amdhsa_uses_dynamic_stack 0
		.amdhsa_enable_private_segment 1
		.amdhsa_system_sgpr_workgroup_id_x 1
		.amdhsa_system_sgpr_workgroup_id_y 0
		.amdhsa_system_sgpr_workgroup_id_z 0
		.amdhsa_system_sgpr_workgroup_info 0
		.amdhsa_system_vgpr_workitem_id 0
		.amdhsa_next_free_vgpr 256
		.amdhsa_next_free_sgpr 58
		.amdhsa_reserve_vcc 1
		.amdhsa_float_round_mode_32 0
		.amdhsa_float_round_mode_16_64 0
		.amdhsa_float_denorm_mode_32 3
		.amdhsa_float_denorm_mode_16_64 3
		.amdhsa_fp16_overflow 0
		.amdhsa_workgroup_processor_mode 1
		.amdhsa_memory_ordered 1
		.amdhsa_forward_progress 0
		.amdhsa_round_robin_scheduling 0
		.amdhsa_exception_fp_ieee_invalid_op 0
		.amdhsa_exception_fp_denorm_src 0
		.amdhsa_exception_fp_ieee_div_zero 0
		.amdhsa_exception_fp_ieee_overflow 0
		.amdhsa_exception_fp_ieee_underflow 0
		.amdhsa_exception_fp_ieee_inexact 0
		.amdhsa_exception_int_div_zero 0
	.end_amdhsa_kernel
	.text
.Lfunc_end0:
	.size	bluestein_single_back_len1190_dim1_dp_op_CI_CI, .Lfunc_end0-bluestein_single_back_len1190_dim1_dp_op_CI_CI
                                        ; -- End function
	.section	.AMDGPU.csdata,"",@progbits
; Kernel info:
; codeLenInByte = 26456
; NumSgprs: 60
; NumVgprs: 256
; ScratchSize: 432
; MemoryBound: 0
; FloatMode: 240
; IeeeMode: 1
; LDSByteSize: 57120 bytes/workgroup (compile time only)
; SGPRBlocks: 7
; VGPRBlocks: 31
; NumSGPRsForWavesPerEU: 60
; NumVGPRsForWavesPerEU: 256
; Occupancy: 4
; WaveLimiterHint : 1
; COMPUTE_PGM_RSRC2:SCRATCH_EN: 1
; COMPUTE_PGM_RSRC2:USER_SGPR: 2
; COMPUTE_PGM_RSRC2:TRAP_HANDLER: 0
; COMPUTE_PGM_RSRC2:TGID_X_EN: 1
; COMPUTE_PGM_RSRC2:TGID_Y_EN: 0
; COMPUTE_PGM_RSRC2:TGID_Z_EN: 0
; COMPUTE_PGM_RSRC2:TIDIG_COMP_CNT: 0
	.text
	.p2alignl 7, 3214868480
	.fill 96, 4, 3214868480
	.type	__hip_cuid_db2c52eab0f4b204,@object ; @__hip_cuid_db2c52eab0f4b204
	.section	.bss,"aw",@nobits
	.globl	__hip_cuid_db2c52eab0f4b204
__hip_cuid_db2c52eab0f4b204:
	.byte	0                               ; 0x0
	.size	__hip_cuid_db2c52eab0f4b204, 1

	.ident	"AMD clang version 19.0.0git (https://github.com/RadeonOpenCompute/llvm-project roc-6.4.0 25133 c7fe45cf4b819c5991fe208aaa96edf142730f1d)"
	.section	".note.GNU-stack","",@progbits
	.addrsig
	.addrsig_sym __hip_cuid_db2c52eab0f4b204
	.amdgpu_metadata
---
amdhsa.kernels:
  - .args:
      - .actual_access:  read_only
        .address_space:  global
        .offset:         0
        .size:           8
        .value_kind:     global_buffer
      - .actual_access:  read_only
        .address_space:  global
        .offset:         8
        .size:           8
        .value_kind:     global_buffer
      - .actual_access:  read_only
        .address_space:  global
        .offset:         16
        .size:           8
        .value_kind:     global_buffer
      - .actual_access:  read_only
        .address_space:  global
        .offset:         24
        .size:           8
        .value_kind:     global_buffer
      - .actual_access:  read_only
        .address_space:  global
        .offset:         32
        .size:           8
        .value_kind:     global_buffer
      - .offset:         40
        .size:           8
        .value_kind:     by_value
      - .address_space:  global
        .offset:         48
        .size:           8
        .value_kind:     global_buffer
      - .address_space:  global
        .offset:         56
        .size:           8
        .value_kind:     global_buffer
      - .address_space:  global
        .offset:         64
        .size:           8
        .value_kind:     global_buffer
      - .address_space:  global
        .offset:         72
        .size:           8
        .value_kind:     global_buffer
      - .offset:         80
        .size:           4
        .value_kind:     by_value
      - .address_space:  global
        .offset:         88
        .size:           8
        .value_kind:     global_buffer
      - .address_space:  global
        .offset:         96
        .size:           8
        .value_kind:     global_buffer
    .group_segment_fixed_size: 57120
    .kernarg_segment_align: 8
    .kernarg_segment_size: 104
    .language:       OpenCL C
    .language_version:
      - 2
      - 0
    .max_flat_workgroup_size: 255
    .name:           bluestein_single_back_len1190_dim1_dp_op_CI_CI
    .private_segment_fixed_size: 432
    .sgpr_count:     60
    .sgpr_spill_count: 0
    .symbol:         bluestein_single_back_len1190_dim1_dp_op_CI_CI.kd
    .uniform_work_group_size: 1
    .uses_dynamic_stack: false
    .vgpr_count:     256
    .vgpr_spill_count: 107
    .wavefront_size: 32
    .workgroup_processor_mode: 1
amdhsa.target:   amdgcn-amd-amdhsa--gfx1201
amdhsa.version:
  - 1
  - 2
...

	.end_amdgpu_metadata
